;; amdgpu-corpus repo=ROCm/rocFFT kind=compiled arch=gfx1201 opt=O3
	.text
	.amdgcn_target "amdgcn-amd-amdhsa--gfx1201"
	.amdhsa_code_object_version 6
	.protected	bluestein_single_fwd_len440_dim1_half_op_CI_CI ; -- Begin function bluestein_single_fwd_len440_dim1_half_op_CI_CI
	.globl	bluestein_single_fwd_len440_dim1_half_op_CI_CI
	.p2align	8
	.type	bluestein_single_fwd_len440_dim1_half_op_CI_CI,@function
bluestein_single_fwd_len440_dim1_half_op_CI_CI: ; @bluestein_single_fwd_len440_dim1_half_op_CI_CI
; %bb.0:
	s_load_b128 s[4:7], s[0:1], 0x28
	v_mul_u32_u24_e32 v1, 0x4a8, v0
	s_mov_b32 s2, exec_lo
	v_mov_b32_e32 v16, 0
	s_delay_alu instid0(VALU_DEP_2) | instskip(NEXT) | instid1(VALU_DEP_1)
	v_lshrrev_b32_e32 v1, 16, v1
	v_add_nc_u32_e32 v15, ttmp9, v1
	s_wait_kmcnt 0x0
	s_delay_alu instid0(VALU_DEP_1)
	v_cmpx_gt_u64_e64 s[4:5], v[15:16]
	s_cbranch_execz .LBB0_23
; %bb.1:
	v_mul_lo_u16 v1, v1, 55
	s_clause 0x1
	s_load_b64 s[12:13], s[0:1], 0x0
	s_load_b64 s[4:5], s[0:1], 0x38
	s_delay_alu instid0(VALU_DEP_1) | instskip(NEXT) | instid1(VALU_DEP_1)
	v_sub_nc_u16 v0, v0, v1
	v_and_b32_e32 v28, 0xffff, v0
	v_cmp_gt_u16_e32 vcc_lo, 40, v0
	s_delay_alu instid0(VALU_DEP_2)
	v_lshlrev_b32_e32 v29, 2, v28
	v_or_b32_e32 v27, 0x140, v28
	s_and_saveexec_b32 s3, vcc_lo
	s_cbranch_execz .LBB0_3
; %bb.2:
	s_load_b64 s[8:9], s[0:1], 0x18
	s_wait_kmcnt 0x0
	s_load_b128 s[8:11], s[8:9], 0x0
	s_clause 0xa
	global_load_b32 v10, v29, s[12:13]
	global_load_b32 v11, v29, s[12:13] offset:160
	global_load_b32 v12, v29, s[12:13] offset:320
	;; [unrolled: 1-line block ×10, first 2 shown]
	s_wait_kmcnt 0x0
	v_mad_co_u64_u32 v[0:1], null, s10, v15, 0
	v_mad_co_u64_u32 v[2:3], null, s8, v28, 0
	;; [unrolled: 1-line block ×3, first 2 shown]
	s_delay_alu instid0(VALU_DEP_2) | instskip(NEXT) | instid1(VALU_DEP_3)
	v_mad_co_u64_u32 v[6:7], null, s11, v15, v[1:2]
	v_mov_b32_e32 v1, v3
	s_delay_alu instid0(VALU_DEP_3) | instskip(SKIP_1) | instid1(VALU_DEP_2)
	v_mov_b32_e32 v3, v5
	s_mul_u64 s[10:11], s[8:9], 0xa0
	v_mad_co_u64_u32 v[7:8], null, s9, v28, v[1:2]
	s_delay_alu instid0(VALU_DEP_4) | instskip(NEXT) | instid1(VALU_DEP_3)
	v_mov_b32_e32 v1, v6
	v_mad_co_u64_u32 v[5:6], null, s9, v27, v[3:4]
	s_delay_alu instid0(VALU_DEP_2) | instskip(NEXT) | instid1(VALU_DEP_4)
	v_lshlrev_b64_e32 v[0:1], 2, v[0:1]
	v_mov_b32_e32 v3, v7
	s_delay_alu instid0(VALU_DEP_1) | instskip(NEXT) | instid1(VALU_DEP_3)
	v_lshlrev_b64_e32 v[2:3], 2, v[2:3]
	v_add_co_u32 v6, s2, s6, v0
	s_delay_alu instid0(VALU_DEP_1) | instskip(NEXT) | instid1(VALU_DEP_2)
	v_add_co_ci_u32_e64 v7, s2, s7, v1, s2
	v_add_co_u32 v0, s2, v6, v2
	s_wait_alu 0xf1ff
	s_delay_alu instid0(VALU_DEP_2)
	v_add_co_ci_u32_e64 v1, s2, v7, v3, s2
	v_lshlrev_b64_e32 v[2:3], 2, v[4:5]
	s_wait_alu 0xfffe
	v_add_co_u32 v4, s2, v0, s10
	s_wait_alu 0xf1ff
	v_add_co_ci_u32_e64 v5, s2, s11, v1, s2
	global_load_b32 v22, v[0:1], off
	v_add_co_u32 v2, s2, v6, v2
	s_wait_alu 0xf1ff
	v_add_co_ci_u32_e64 v3, s2, v7, v3, s2
	v_add_co_u32 v6, s2, v4, s10
	s_wait_alu 0xf1ff
	v_add_co_ci_u32_e64 v7, s2, s11, v5, s2
	s_clause 0x2
	global_load_b32 v23, v[2:3], off
	global_load_b32 v24, v[4:5], off
	;; [unrolled: 1-line block ×3, first 2 shown]
	v_add_co_u32 v0, s2, v6, s10
	s_wait_alu 0xf1ff
	v_add_co_ci_u32_e64 v1, s2, s11, v7, s2
	s_delay_alu instid0(VALU_DEP_2)
	v_add_co_u32 v2, s2, v0, s10
	global_load_b32 v26, v[0:1], off
	s_wait_alu 0xf1ff
	v_add_co_ci_u32_e64 v3, s2, s11, v1, s2
	v_add_co_u32 v4, s2, v2, s10
	s_wait_alu 0xf1ff
	s_delay_alu instid0(VALU_DEP_2) | instskip(NEXT) | instid1(VALU_DEP_2)
	v_add_co_ci_u32_e64 v5, s2, s11, v3, s2
	v_add_co_u32 v8, s2, v4, s10
	global_load_b32 v30, v[2:3], off
	global_load_b32 v4, v[4:5], off
	s_wait_alu 0xf1ff
	v_add_co_ci_u32_e64 v9, s2, s11, v5, s2
	v_add_co_u32 v6, s2, v8, s10
	s_wait_alu 0xf1ff
	s_delay_alu instid0(VALU_DEP_2) | instskip(NEXT) | instid1(VALU_DEP_1)
	v_add_co_ci_u32_e64 v7, s2, s11, v9, s2
	v_mad_co_u64_u32 v[0:1], null, 0x140, s8, v[6:7]
	global_load_b32 v5, v[8:9], off
	global_load_b32 v6, v[6:7], off
	v_mad_co_u64_u32 v[1:2], null, 0x140, s9, v[1:2]
	v_add_co_u32 v2, s2, v0, s10
	s_wait_alu 0xf1ff
	s_delay_alu instid0(VALU_DEP_2)
	v_add_co_ci_u32_e64 v3, s2, s11, v1, s2
	global_load_b32 v0, v[0:1], off
	global_load_b32 v1, v[2:3], off
	s_wait_loadcnt 0x15
	v_lshrrev_b32_e32 v2, 16, v10
	s_wait_loadcnt 0x14
	v_lshrrev_b32_e32 v3, 16, v11
	;; [unrolled: 2-line block ×7, first 2 shown]
	v_lshrrev_b32_e32 v32, 16, v17
	v_lshrrev_b32_e32 v33, 16, v18
	s_wait_loadcnt 0xc
	v_lshrrev_b32_e32 v35, 16, v20
	s_wait_loadcnt 0xb
	;; [unrolled: 2-line block ×3, first 2 shown]
	v_lshrrev_b32_e32 v36, 16, v22
	v_mul_f16_e32 v37, v2, v22
	s_delay_alu instid0(VALU_DEP_2) | instskip(NEXT) | instid1(VALU_DEP_2)
	v_mul_f16_e32 v2, v2, v36
	v_fma_f16 v36, v10, v36, -v37
	s_wait_loadcnt 0x9
	v_lshrrev_b32_e32 v39, 16, v23
	s_wait_loadcnt 0x8
	v_lshrrev_b32_e32 v37, 16, v24
	v_mul_f16_e32 v40, v34, v23
	v_mul_f16_e32 v41, v3, v24
	v_fmac_f16_e32 v2, v10, v22
	v_mul_f16_e32 v34, v34, v39
	v_mul_f16_e32 v3, v3, v37
	s_wait_loadcnt 0x7
	v_lshrrev_b32_e32 v22, 16, v25
	v_fma_f16 v39, v19, v39, -v40
	v_fma_f16 v10, v11, v37, -v41
	v_mul_f16_e32 v37, v7, v25
	v_fmac_f16_e32 v34, v19, v23
	v_fmac_f16_e32 v3, v11, v24
	v_mul_f16_e32 v7, v7, v22
	s_wait_loadcnt 0x6
	v_lshrrev_b32_e32 v11, 16, v26
	v_mul_f16_e32 v19, v8, v26
	v_pack_b32_f16 v2, v2, v36
	v_fma_f16 v22, v12, v22, -v37
	v_pack_b32_f16 v3, v3, v10
	v_fmac_f16_e32 v7, v12, v25
	v_mul_f16_e32 v8, v8, v11
	v_fma_f16 v10, v13, v11, -v19
	s_wait_loadcnt 0x5
	v_lshrrev_b32_e32 v11, 16, v30
	v_mul_f16_e32 v12, v9, v30
	ds_store_2addr_b32 v29, v2, v3 offset1:40
	v_pack_b32_f16 v2, v7, v22
	v_fmac_f16_e32 v8, v13, v26
	v_mul_f16_e32 v3, v9, v11
	s_wait_loadcnt 0x4
	v_lshrrev_b32_e32 v7, 16, v4
	v_fma_f16 v9, v14, v11, -v12
	v_mul_f16_e32 v11, v31, v4
	v_pack_b32_f16 v8, v8, v10
	v_fmac_f16_e32 v3, v14, v30
	v_mul_f16_e32 v10, v31, v7
	s_wait_loadcnt 0x3
	v_lshrrev_b32_e32 v12, 16, v5
	v_fma_f16 v7, v16, v7, -v11
	v_mul_f16_e32 v11, v32, v5
	;; [unrolled: 7-line block ×3, first 2 shown]
	v_pack_b32_f16 v7, v10, v7
	v_fmac_f16_e32 v4, v17, v5
	v_mul_f16_e32 v5, v33, v9
	s_delay_alu instid0(VALU_DEP_4) | instskip(NEXT) | instid1(VALU_DEP_3)
	v_fma_f16 v9, v18, v9, -v13
	v_pack_b32_f16 v4, v4, v11
	s_delay_alu instid0(VALU_DEP_3)
	v_fmac_f16_e32 v5, v18, v6
	s_wait_loadcnt 0x1
	v_lshrrev_b32_e32 v10, 16, v0
	s_wait_loadcnt 0x0
	v_lshrrev_b32_e32 v12, 16, v1
	v_mul_f16_e32 v6, v35, v0
	v_mul_f16_e32 v14, v38, v1
	v_pack_b32_f16 v5, v5, v9
	v_mul_f16_e32 v11, v35, v10
	v_mul_f16_e32 v13, v38, v12
	v_fma_f16 v6, v20, v10, -v6
	v_pack_b32_f16 v9, v34, v39
	v_add_nc_u32_e32 v10, 0x400, v29
	v_fmac_f16_e32 v11, v20, v0
	v_fmac_f16_e32 v13, v21, v1
	v_fma_f16 v0, v21, v12, -v14
	v_add_nc_u32_e32 v1, 0x200, v29
	s_delay_alu instid0(VALU_DEP_4) | instskip(NEXT) | instid1(VALU_DEP_3)
	v_pack_b32_f16 v6, v11, v6
	v_pack_b32_f16 v0, v13, v0
	ds_store_2addr_b32 v29, v2, v8 offset0:80 offset1:120
	ds_store_2addr_b32 v29, v3, v7 offset0:160 offset1:200
	;; [unrolled: 1-line block ×4, first 2 shown]
	ds_store_b32 v29, v0 offset:1600
.LBB0_3:
	s_or_b32 exec_lo, exec_lo, s3
	s_load_b64 s[6:7], s[0:1], 0x20
	v_mov_b32_e32 v0, 0
	global_wb scope:SCOPE_SE
	s_wait_dscnt 0x0
	s_wait_kmcnt 0x0
	s_barrier_signal -1
	s_barrier_wait -1
	global_inv scope:SCOPE_SE
                                        ; implicit-def: $vgpr11
                                        ; implicit-def: $vgpr3
                                        ; implicit-def: $vgpr5
                                        ; implicit-def: $vgpr7
                                        ; implicit-def: $vgpr9
	s_and_saveexec_b32 s2, vcc_lo
	s_cbranch_execz .LBB0_5
; %bb.4:
	v_add_nc_u32_e32 v2, 0x200, v29
	v_add_nc_u32_e32 v3, 0x400, v29
	ds_load_2addr_b32 v[0:1], v29 offset1:40
	ds_load_2addr_b32 v[8:9], v29 offset0:80 offset1:120
	ds_load_2addr_b32 v[6:7], v29 offset0:160 offset1:200
	;; [unrolled: 1-line block ×4, first 2 shown]
	ds_load_b32 v11, v29 offset:1600
.LBB0_5:
	s_wait_alu 0xfffe
	s_or_b32 exec_lo, exec_lo, s2
	s_wait_dscnt 0x0
	v_pk_add_f16 v13, v1, v11 neg_lo:[0,1] neg_hi:[0,1]
	v_pk_add_f16 v16, v8, v3 neg_lo:[0,1] neg_hi:[0,1]
	v_pk_add_f16 v12, v11, v1
	v_pk_add_f16 v14, v3, v8
	v_lshrrev_b32_e32 v10, 16, v0
	v_lshrrev_b32_e32 v17, 16, v13
	;; [unrolled: 1-line block ×3, first 2 shown]
	v_pk_mul_f16 v18, 0x3abb36a6, v12
	v_lshrrev_b32_e32 v50, 16, v12
	v_mul_f16_e32 v39, 0xbb47, v13
	v_mul_f16_e32 v35, 0xb853, v17
	;; [unrolled: 1-line block ×4, first 2 shown]
	v_pk_fma_f16 v24, 0xbb47b853, v13, v18 op_sel:[0,0,1] op_sel_hi:[1,1,0] neg_lo:[0,1,0] neg_hi:[0,1,0]
	v_fma_f16 v20, v50, 0x36a6, -v39
	v_fmamk_f16 v17, v12, 0x3abb, v35
	v_pk_fma_f16 v33, 0xbb47b853, v13, v18 op_sel:[0,0,1] op_sel_hi:[1,1,0]
	v_fmamk_f16 v23, v14, 0x36a6, v34
	v_lshrrev_b32_e32 v56, 16, v14
	v_pk_add_f16 v18, v9, v2 neg_lo:[0,1] neg_hi:[0,1]
	v_add_f16_e32 v17, v17, v0
	v_mul_f16_e32 v44, 0xba0c, v16
	v_mul_f16_e32 v45, 0xbbeb, v13
	v_add_f16_e32 v20, v20, v10
	v_lshrrev_b32_e32 v25, 16, v18
	v_add_f16_e32 v17, v23, v17
	v_pk_mul_f16 v23, 0x36a6b93d, v14
	v_fma_f16 v26, v56, 0xb93d, -v44
	v_fma_f16 v21, v50, 0xb08e, -v45
	v_fmamk_f16 v22, v12, 0xb08e, v43
	v_mul_f16_e32 v48, 0x3482, v19
	v_mul_f16_e32 v53, 0x3482, v16
	v_pk_fma_f16 v36, 0xba0cbb47, v16, v23 op_sel:[0,0,1] op_sel_hi:[1,1,0] neg_lo:[0,1,0] neg_hi:[0,1,0]
	v_pk_add_f16 v19, v2, v9
	v_mul_f16_e32 v38, 0xbbeb, v25
	v_pk_fma_f16 v37, 0xba0cbb47, v16, v23 op_sel:[0,0,1] op_sel_hi:[1,1,0]
	v_add_f16_e32 v23, v26, v20
	v_pk_add_f16 v20, v6, v5 neg_lo:[0,1] neg_hi:[0,1]
	v_add_f16_e32 v22, v22, v0
	v_add_f16_e32 v21, v21, v10
	v_fmamk_f16 v30, v14, 0xbbad, v48
	v_fma_f16 v31, v56, 0xbbad, -v53
	v_fmamk_f16 v26, v19, 0xb08e, v38
	v_lshrrev_b32_e32 v61, 16, v19
	v_mul_f16_e32 v51, 0x3482, v18
	v_mul_f16_e32 v55, 0x3b47, v25
	v_lshrrev_b32_e32 v25, 16, v20
	v_add_f16_e32 v22, v30, v22
	v_add_f16_e32 v21, v31, v21
	v_pk_mul_f16 v30, 0xb08ebbad, v19
	v_add_f16_e32 v26, v26, v17
	v_fma_f16 v31, v61, 0xbbad, -v51
	v_mul_f16_e32 v60, 0x3b47, v18
	v_pk_add_f16 v17, v5, v6
	v_mul_f16_e32 v42, 0xba0c, v25
	v_pk_fma_f16 v40, 0x3482bbeb, v18, v30 op_sel:[0,0,1] op_sel_hi:[1,1,0] neg_lo:[0,1,0] neg_hi:[0,1,0]
	v_fmamk_f16 v32, v19, 0x36a6, v55
	v_pk_fma_f16 v41, 0x3482bbeb, v18, v30 op_sel:[0,0,1] op_sel_hi:[1,1,0]
	v_add_f16_e32 v23, v31, v23
	v_fma_f16 v30, v61, 0x36a6, -v60
	v_fmamk_f16 v31, v17, 0xb93d, v42
	v_mul_f16_e32 v59, 0xb853, v25
	v_add_f16_e32 v22, v32, v22
	v_lshrrev_b32_e32 v65, 16, v17
	v_mul_f16_e32 v49, 0x3beb, v20
	v_pk_mul_f16 v32, 0xb93db08e, v17
	v_add_f16_e32 v25, v30, v21
	v_add_f16_e32 v26, v31, v26
	v_fmamk_f16 v31, v17, 0x3abb, v59
	v_pk_add_f16 v21, v7, v4 neg_lo:[0,1] neg_hi:[0,1]
	v_fma_f16 v30, v65, 0xb08e, -v49
	v_pk_fma_f16 v46, 0x3bebba0c, v20, v32 op_sel:[0,0,1] op_sel_hi:[1,1,0] neg_lo:[0,1,0] neg_hi:[0,1,0]
	v_pk_fma_f16 v47, 0x3bebba0c, v20, v32 op_sel:[0,0,1] op_sel_hi:[1,1,0]
	v_mul_f16_e32 v63, 0xb853, v20
	v_add_f16_e32 v52, v31, v22
	v_lshrrev_b32_e32 v22, 16, v21
	v_add_f16_e32 v31, v24, v10
	v_lshrrev_b32_e32 v32, 16, v33
	v_add_f16_e32 v30, v30, v23
	v_fma_f16 v57, v65, 0x3abb, -v63
	v_pk_add_f16 v23, v4, v7
	v_mul_f16_e32 v54, 0xb482, v22
	v_add_f16_e32 v31, v36, v31
	v_add_f16_e32 v32, v32, v0
	v_lshrrev_b32_e32 v58, 16, v37
	s_load_b64 s[2:3], s[0:1], 0x8
	v_add_f16_e32 v68, v57, v25
	v_fmamk_f16 v25, v23, 0xbbad, v54
	v_pk_mul_f16 v62, 0xbbad3abb, v23
	v_add_f16_e32 v64, v40, v31
	v_add_f16_e32 v32, v58, v32
	v_lshrrev_b32_e32 v58, 16, v41
	v_add_f16_e32 v31, v25, v26
	v_pk_fma_f16 v57, 0x3853b482, v21, v62 op_sel:[0,0,1] op_sel_hi:[1,1,0] neg_lo:[0,1,0] neg_hi:[0,1,0]
	v_add_f16_e32 v25, v46, v64
	v_lshrrev_b32_e32 v67, 16, v23
	v_add_f16_e32 v26, v58, v32
	v_lshrrev_b32_e32 v32, 16, v47
	v_pk_fma_f16 v58, 0x3853b482, v21, v62 op_sel:[0,0,1] op_sel_hi:[1,1,0]
	v_mul_f16_e32 v62, 0x3853, v21
	v_mul_f16_e32 v64, 0xba0c, v22
	;; [unrolled: 1-line block ×3, first 2 shown]
	v_add_f16_e32 v22, v32, v26
	v_lshrrev_b32_e32 v26, 16, v58
	v_fma_f16 v69, v67, 0x3abb, -v62
	v_fmamk_f16 v70, v23, 0xb93d, v64
	v_fma_f16 v71, v67, 0xb93d, -v66
	v_add_f16_e32 v32, v57, v25
	v_add_f16_e32 v22, v26, v22
	;; [unrolled: 1-line block ×5, first 2 shown]
	v_mul_lo_u16 v30, v28, 11
	global_wb scope:SCOPE_SE
	s_wait_kmcnt 0x0
	s_barrier_signal -1
	s_barrier_wait -1
	global_inv scope:SCOPE_SE
	s_and_saveexec_b32 s0, vcc_lo
	s_cbranch_execz .LBB0_7
; %bb.6:
	v_pk_add_f16 v1, v1, v0
	v_mul_f16_e32 v68, 0x3abb, v12
	v_mul_f16_e32 v70, 0x36a6, v50
	;; [unrolled: 1-line block ×4, first 2 shown]
	v_pk_add_f16 v1, v8, v1
	v_sub_f16_e32 v35, v68, v35
	v_mul_f16_e32 v75, 0xb08e, v19
	v_add_f16_e32 v39, v39, v70
	v_sub_f16_e32 v34, v72, v34
	v_pk_add_f16 v1, v9, v1
	v_add_f16_e32 v35, v35, v0
	v_bfi_b32 v24, 0xffff, v33, v24
	v_mul_f16_e32 v50, 0xb08e, v50
	v_mul_f16_e32 v76, 0xbbad, v61
	v_pk_add_f16 v1, v6, v1
	v_add_f16_e32 v39, v39, v10
	v_add_f16_e32 v44, v44, v73
	;; [unrolled: 1-line block ×3, first 2 shown]
	v_sub_f16_e32 v9, v75, v38
	v_pk_add_f16 v1, v7, v1
	v_bfi_b32 v33, 0xffff, v37, v36
	v_mul_f16_e32 v71, 0xb08e, v12
	v_mul_f16_e32 v56, 0xbbad, v56
	v_add_f16_e32 v45, v45, v50
	v_pk_add_f16 v1, v4, v1
	v_pk_add_f16 v4, v24, v0 op_sel:[0,1] op_sel_hi:[1,0]
	v_mul_f16_e32 v50, 0xb93d, v17
	v_mul_f16_e32 v78, 0xb08e, v65
	v_add_f16_e32 v39, v44, v39
	v_pk_add_f16 v1, v5, v1
	v_add_f16_e32 v44, v51, v76
	v_add_f16_e32 v6, v9, v34
	v_bfi_b32 v34, 0xffff, v41, v40
	v_pk_mul_f16 v24, 0xbbad, v12 op_sel_hi:[0,1]
	v_pk_add_f16 v4, v33, v4
	v_pk_add_f16 v1, v2, v1
	v_add_f16_e32 v53, v53, v56
	v_mul_f16_e32 v56, 0xbbad, v23
	v_sub_f16_e32 v43, v71, v43
	v_mul_f16_e32 v71, 0x3abb, v67
	v_add_f16_e32 v39, v44, v39
	v_add_f16_e32 v44, v49, v78
	v_sub_f16_e32 v9, v50, v42
	v_bfi_b32 v7, 0xffff, v47, v46
	v_pk_mul_f16 v33, 0x3abb, v14 op_sel_hi:[0,1]
	v_pk_add_f16 v2, v34, v4
	v_pk_add_f16 v1, v3, v1
	v_pk_fma_f16 v3, 0xb482, v13, v24 op_sel:[0,0,1] op_sel_hi:[0,1,0]
	v_add_f16_e32 v39, v44, v39
	v_add_f16_e32 v44, v62, v71
	;; [unrolled: 1-line block ×3, first 2 shown]
	v_sub_f16_e32 v9, v56, v54
	v_bfi_b32 v36, 0xffff, v58, v57
	v_pk_fma_f16 v34, 0x3853, v16, v33 op_sel:[0,0,1] op_sel_hi:[0,1,0] neg_lo:[0,1,0] neg_hi:[0,1,0]
	v_pk_mul_f16 v37, 0xb93d, v19 op_sel_hi:[0,1]
	v_pk_add_f16 v2, v7, v2
	v_pk_add_f16 v3, v3, v0 op_sel:[0,1] op_sel_hi:[1,0]
	v_pk_fma_f16 v33, 0x3853, v16, v33 op_sel:[0,0,1] op_sel_hi:[0,1,0]
	s_wait_alu 0xfffe
	v_alignbit_b32 v69, s0, v0, 16
	v_add_f16_e32 v35, v44, v39
	v_add_f16_e32 v6, v9, v6
	v_pk_fma_f16 v5, 0xb482, v13, v24 op_sel:[0,0,1] op_sel_hi:[0,1,0] neg_lo:[0,1,0] neg_hi:[0,1,0]
	v_pk_mul_f16 v24, 0x36a6, v17 op_sel_hi:[0,1]
	v_pk_add_f16 v2, v36, v2
	v_pk_add_f16 v3, v33, v3
	v_pk_fma_f16 v33, 0xba0c, v18, v37 op_sel:[0,0,1] op_sel_hi:[0,1,0]
	v_pk_add_f16 v4, v5, v69
	v_pk_fma_f16 v36, 0x3b47, v20, v24 op_sel:[0,0,1] op_sel_hi:[0,1,0] neg_lo:[0,1,0] neg_hi:[0,1,0]
	v_pk_add_f16 v1, v11, v1
	v_alignbit_b32 v11, v35, v2, 16
	v_pk_add_f16 v3, v33, v3
	v_pk_fma_f16 v24, 0x3b47, v20, v24 op_sel:[0,0,1] op_sel_hi:[0,1,0]
	v_alignbit_b32 v5, s0, v5, 16
	v_pack_b32_f16 v2, v6, v2
	v_pk_mul_f16 v6, 0xba0c, v13 op_sel_hi:[0,1]
	v_pk_add_f16 v4, v34, v4
	v_pk_fma_f16 v7, 0xba0c, v18, v37 op_sel:[0,0,1] op_sel_hi:[0,1,0] neg_lo:[0,1,0] neg_hi:[0,1,0]
	v_pk_add_f16 v3, v24, v3
	v_pk_add_f16 v5, v5, v0
	v_alignbit_b32 v13, s0, v34, 16
	v_pk_fma_f16 v24, 0xb93d, v12, v6 op_sel:[0,0,1] op_sel_hi:[0,1,0]
	v_pk_fma_f16 v6, 0xb93d, v12, v6 op_sel:[0,0,1] op_sel_hi:[0,1,0] neg_lo:[0,0,1] neg_hi:[0,0,1]
	v_pk_mul_f16 v12, 0x3beb, v16 op_sel_hi:[0,1]
	v_mul_f16_e32 v74, 0xbbad, v14
	v_pk_add_f16 v4, v7, v4
	v_pk_mul_f16 v38, 0xb08e, v23 op_sel_hi:[0,1]
	v_pk_add_f16 v5, v13, v5
	v_alignbit_b32 v7, s0, v7, 16
	v_bfi_b32 v13, 0xffff, v24, v6
	v_pk_fma_f16 v33, 0xb08e, v14, v12 op_sel:[0,0,1] op_sel_hi:[0,1,0]
	v_pk_fma_f16 v12, 0xb08e, v14, v12 op_sel:[0,0,1] op_sel_hi:[0,1,0] neg_lo:[0,0,1] neg_hi:[0,0,1]
	v_pk_mul_f16 v14, 0xb853, v18 op_sel_hi:[0,1]
	v_mul_f16_e32 v77, 0x36a6, v19
	v_pk_fma_f16 v16, 0xbbeb, v21, v38 op_sel:[0,0,1] op_sel_hi:[0,1,0]
	v_pk_add_f16 v5, v7, v5
	v_alignbit_b32 v7, s0, v36, 16
	v_pk_add_f16 v13, v13, v0
	v_bfi_b32 v18, 0xffff, v33, v12
	v_pk_fma_f16 v34, 0x3abb, v19, v14 op_sel:[0,0,1] op_sel_hi:[0,1,0]
	v_pk_fma_f16 v14, 0x3abb, v19, v14 op_sel:[0,0,1] op_sel_hi:[0,1,0] neg_lo:[0,0,1] neg_hi:[0,0,1]
	v_lshrrev_b32_e32 v19, 16, v24
	v_mul_f16_e32 v61, 0x36a6, v61
	v_add_f16_e32 v45, v45, v10
	v_add_f16_e32 v43, v43, v0
	v_sub_f16_e32 v48, v74, v48
	v_pk_add_f16 v3, v16, v3
	v_pk_add_f16 v5, v7, v5
	;; [unrolled: 1-line block ×3, first 2 shown]
	v_bfi_b32 v13, 0xffff, v34, v14
	v_add_f16_e32 v10, v19, v10
	v_lshrrev_b32_e32 v16, 16, v33
	v_pk_mul_f16 v19, 0xb482, v20 op_sel_hi:[0,1]
	v_add_f16_e32 v0, v6, v0
	v_mul_f16_e32 v79, 0x3abb, v17
	v_mul_f16_e32 v65, 0x3abb, v65
	v_add_f16_e32 v45, v53, v45
	v_add_f16_e32 v53, v60, v61
	;; [unrolled: 1-line block ×3, first 2 shown]
	v_sub_f16_e32 v48, v77, v55
	v_pk_add_f16 v7, v13, v7
	v_add_f16_e32 v6, v16, v10
	v_lshrrev_b32_e32 v10, 16, v34
	v_pk_fma_f16 v13, 0xbbad, v17, v19 op_sel:[0,0,1] op_sel_hi:[0,1,0]
	v_pk_mul_f16 v16, 0x3b47, v21 op_sel_hi:[0,1]
	v_add_f16_e32 v0, v12, v0
	v_pk_fma_f16 v35, 0xbbeb, v21, v38 op_sel:[0,0,1] op_sel_hi:[0,1,0] neg_lo:[0,1,0] neg_hi:[0,1,0]
	v_mul_f16_e32 v80, 0xb93d, v23
	v_mul_f16_e32 v60, 0xb93d, v67
	v_add_f16_e32 v45, v53, v45
	v_add_f16_e32 v53, v63, v65
	;; [unrolled: 1-line block ×3, first 2 shown]
	v_sub_f16_e32 v48, v79, v59
	v_pk_fma_f16 v12, 0xbbad, v17, v19 op_sel:[0,0,1] op_sel_hi:[0,1,0] neg_lo:[0,0,1] neg_hi:[0,0,1]
	v_add_f16_e32 v6, v10, v6
	v_lshrrev_b32_e32 v10, 16, v13
	v_pk_fma_f16 v17, 0x36a6, v23, v16 op_sel:[0,0,1] op_sel_hi:[0,1,0]
	v_add_f16_e32 v0, v14, v0
	v_pk_add_f16 v4, v36, v4
	v_alignbit_b32 v18, s0, v35, 16
	v_add_f16_e32 v45, v53, v45
	v_add_f16_e32 v53, v66, v60
	;; [unrolled: 1-line block ×3, first 2 shown]
	v_sub_f16_e32 v8, v80, v64
	v_bfi_b32 v13, 0xffff, v13, v12
	v_pk_fma_f16 v14, 0x36a6, v23, v16 op_sel:[0,0,1] op_sel_hi:[0,1,0] neg_lo:[0,0,1] neg_hi:[0,0,1]
	v_add_f16_e32 v6, v10, v6
	v_lshrrev_b32_e32 v10, 16, v17
	v_add_f16_e32 v0, v12, v0
	v_and_b32_e32 v9, 0xffff, v30
	v_pk_add_f16 v4, v35, v4
	v_pk_add_f16 v5, v18, v5
	v_add_f16_e32 v45, v53, v45
	v_add_f16_e32 v8, v8, v43
	v_pk_add_f16 v7, v13, v7
	v_bfi_b32 v12, 0xffff, v17, v14
	v_add_f16_e32 v6, v10, v6
	v_add_f16_e32 v0, v14, v0
	v_lshlrev_b32_e32 v9, 2, v9
	v_alignbit_b32 v4, v4, v3, 16
	v_pack_b32_f16 v3, v5, v3
	v_pk_add_f16 v5, v12, v7
	v_pack_b32_f16 v7, v8, v45
	v_pack_b32_f16 v0, v0, v6
	v_perm_b32 v6, v52, v25, 0x5040100
	v_perm_b32 v8, v32, v31, 0x5040100
	;; [unrolled: 1-line block ×3, first 2 shown]
	ds_store_b32 v9, v1
	ds_store_2addr_b32 v9, v2, v11 offset0:1 offset1:2
	ds_store_2addr_b32 v9, v3, v4 offset0:5 offset1:6
	;; [unrolled: 1-line block ×5, first 2 shown]
.LBB0_7:
	s_wait_alu 0xfffe
	s_or_b32 exec_lo, exec_lo, s0
	v_and_b32_e32 v0, 0xff, v28
	s_load_b128 s[20:23], s[6:7], 0x0
	global_wb scope:SCOPE_SE
	s_wait_dscnt 0x0
	s_wait_kmcnt 0x0
	s_barrier_signal -1
	s_barrier_wait -1
	v_mul_lo_u16 v0, 0x75, v0
	global_inv scope:SCOPE_SE
	v_add_nc_u32_e32 v56, 0x200, v29
	v_add_nc_u32_e32 v10, 0x400, v29
	v_cmp_gt_u16_e64 s0, 33, v28
	v_lshrrev_b16 v0, 8, v0
	s_delay_alu instid0(VALU_DEP_1) | instskip(NEXT) | instid1(VALU_DEP_1)
	v_sub_nc_u16 v1, v28, v0
	v_lshrrev_b16 v1, 1, v1
	s_delay_alu instid0(VALU_DEP_1) | instskip(NEXT) | instid1(VALU_DEP_1)
	v_and_b32_e32 v1, 0x7f, v1
	v_add_nc_u16 v0, v1, v0
	s_delay_alu instid0(VALU_DEP_1) | instskip(NEXT) | instid1(VALU_DEP_1)
	v_lshrrev_b16 v16, 3, v0
	v_mul_lo_u16 v0, v16, 11
	v_and_b32_e32 v16, 0xffff, v16
	s_delay_alu instid0(VALU_DEP_2) | instskip(NEXT) | instid1(VALU_DEP_2)
	v_sub_nc_u16 v0, v28, v0
	v_mul_u32_u24_e32 v16, 0x58, v16
	s_delay_alu instid0(VALU_DEP_2) | instskip(NEXT) | instid1(VALU_DEP_1)
	v_and_b32_e32 v17, 0xff, v0
	v_mad_co_u64_u32 v[0:1], null, v17, 28, s[2:3]
	s_delay_alu instid0(VALU_DEP_3)
	v_add_lshl_u32 v33, v16, v17, 2
	s_clause 0x1
	global_load_b128 v[4:7], v[0:1], off
	global_load_b96 v[12:14], v[0:1], off offset:16
	ds_load_2addr_b32 v[0:1], v29 offset1:55
	ds_load_2addr_b32 v[2:3], v29 offset0:110 offset1:165
	ds_load_2addr_b32 v[8:9], v56 offset0:92 offset1:147
	ds_load_2addr_b32 v[10:11], v10 offset0:74 offset1:129
	global_wb scope:SCOPE_SE
	s_wait_loadcnt_dscnt 0x0
	s_barrier_signal -1
	s_barrier_wait -1
	global_inv scope:SCOPE_SE
	v_lshrrev_b32_e32 v19, 16, v1
	v_lshrrev_b32_e32 v20, 16, v2
	v_lshrrev_b32_e32 v21, 16, v3
	v_lshrrev_b32_e32 v23, 16, v8
	v_lshrrev_b32_e32 v24, 16, v9
	v_lshrrev_b32_e32 v34, 16, v10
	v_lshrrev_b32_e32 v35, 16, v11
	v_lshrrev_b32_e32 v18, 16, v0
	v_lshrrev_b32_e32 v46, 16, v4
	v_lshrrev_b32_e32 v44, 16, v5
	v_lshrrev_b32_e32 v43, 16, v6
	v_lshrrev_b32_e32 v40, 16, v7
	v_lshrrev_b32_e32 v41, 16, v12
	v_lshrrev_b32_e32 v39, 16, v13
	v_lshrrev_b32_e32 v38, 16, v14
	v_mul_f16_e32 v16, v19, v46
	v_mul_f16_e32 v17, v1, v46
	;; [unrolled: 1-line block ×14, first 2 shown]
	v_fma_f16 v1, v1, v4, -v16
	v_fmac_f16_e32 v17, v19, v4
	v_fma_f16 v2, v2, v5, -v36
	v_fmac_f16_e32 v37, v20, v5
	;; [unrolled: 2-line block ×7, first 2 shown]
	v_sub_f16_e32 v8, v0, v8
	v_sub_f16_e32 v16, v18, v48
	;; [unrolled: 1-line block ×8, first 2 shown]
	v_fma_f16 v0, v0, 2.0, -v8
	v_fma_f16 v18, v18, 2.0, -v16
	;; [unrolled: 1-line block ×8, first 2 shown]
	v_sub_f16_e32 v19, v8, v19
	v_add_f16_e32 v10, v16, v10
	v_sub_f16_e32 v21, v9, v21
	v_add_f16_e32 v11, v20, v11
	v_sub_f16_e32 v2, v0, v2
	v_sub_f16_e32 v23, v18, v23
	v_fma_f16 v8, v8, 2.0, -v19
	v_fma_f16 v34, v16, 2.0, -v10
	v_sub_f16_e32 v3, v1, v3
	v_sub_f16_e32 v35, v17, v24
	v_fma_f16 v9, v9, 2.0, -v21
	v_fma_f16 v20, v20, 2.0, -v11
	v_fmamk_f16 v24, v21, 0x39a8, v19
	v_fmamk_f16 v55, v11, 0x39a8, v10
	v_fma_f16 v0, v0, 2.0, -v2
	v_fma_f16 v18, v18, 2.0, -v23
	;; [unrolled: 1-line block ×4, first 2 shown]
	v_fmamk_f16 v16, v9, 0xb9a8, v8
	v_fmamk_f16 v49, v20, 0xb9a8, v34
	v_sub_f16_e32 v17, v2, v35
	v_add_f16_e32 v57, v23, v3
	v_fmac_f16_e32 v24, 0xb9a8, v11
	v_fmac_f16_e32 v55, 0x39a8, v21
	v_sub_f16_e32 v1, v0, v1
	v_sub_f16_e32 v3, v18, v36
	v_fmac_f16_e32 v16, 0xb9a8, v20
	v_fmac_f16_e32 v49, 0x39a8, v9
	v_fma_f16 v2, v2, 2.0, -v17
	v_fma_f16 v9, v23, 2.0, -v57
	;; [unrolled: 1-line block ×8, first 2 shown]
	v_pack_b32_f16 v19, v17, v57
	v_pack_b32_f16 v20, v24, v55
	;; [unrolled: 1-line block ×8, first 2 shown]
	ds_store_2addr_b32 v33, v19, v20 offset0:66 offset1:77
	ds_store_2addr_b32 v33, v2, v9 offset0:22 offset1:33
	;; [unrolled: 1-line block ×3, first 2 shown]
	ds_store_2addr_b32 v33, v0, v8 offset1:11
	global_wb scope:SCOPE_SE
	s_wait_dscnt 0x0
	s_barrier_signal -1
	s_barrier_wait -1
	global_inv scope:SCOPE_SE
	ds_load_2addr_b32 v[18:19], v29 offset1:88
	ds_load_2addr_b32 v[20:21], v56 offset0:48 offset1:136
	ds_load_b32 v23, v29 offset:1408
	s_and_saveexec_b32 s1, s0
	s_cbranch_execz .LBB0_9
; %bb.8:
	ds_load_2addr_b32 v[16:17], v29 offset0:55 offset1:143
	ds_load_2addr_b32 v[24:25], v56 offset0:103 offset1:191
	ds_load_b32 v22, v29 offset:1628
	s_wait_dscnt 0x2
	v_lshrrev_b32_e32 v49, 16, v16
	v_lshrrev_b32_e32 v57, 16, v17
	s_wait_dscnt 0x1
	v_lshrrev_b32_e32 v55, 16, v24
	v_lshrrev_b32_e32 v52, 16, v25
	s_wait_dscnt 0x0
	v_lshrrev_b32_e32 v26, 16, v22
.LBB0_9:
	s_wait_alu 0xfffe
	s_or_b32 exec_lo, exec_lo, s1
	v_lshlrev_b32_e32 v0, 4, v28
	s_wait_dscnt 0x2
	v_lshrrev_b32_e32 v34, 16, v19
	s_wait_dscnt 0x1
	v_lshrrev_b32_e32 v35, 16, v20
	v_lshrrev_b32_e32 v36, 16, v21
	s_wait_dscnt 0x0
	v_lshrrev_b32_e32 v37, 16, v23
	global_load_b128 v[8:11], v0, s[2:3] offset:308
	v_add_co_u32 v0, s1, v28, 55
	s_wait_alu 0xf1ff
	v_add_co_ci_u32_e64 v1, null, 0, 0, s1
	v_add_co_u32 v2, s1, 0xffffffdf, v28
	s_wait_alu 0xf1ff
	v_add_co_ci_u32_e64 v3, null, 0, -1, s1
	v_lshrrev_b32_e32 v50, 16, v18
	s_delay_alu instid0(VALU_DEP_3) | instskip(NEXT) | instid1(VALU_DEP_3)
	v_cndmask_b32_e64 v0, v2, v0, s0
	v_cndmask_b32_e64 v1, v3, v1, s0
	s_delay_alu instid0(VALU_DEP_1) | instskip(NEXT) | instid1(VALU_DEP_1)
	v_lshlrev_b64_e32 v[0:1], 4, v[0:1]
	v_add_co_u32 v0, s1, s2, v0
	s_wait_alu 0xf1ff
	s_delay_alu instid0(VALU_DEP_2)
	v_add_co_ci_u32_e64 v1, s1, s3, v1, s1
	global_load_b128 v[0:3], v[0:1], off offset:308
	s_wait_loadcnt 0x1
	v_lshrrev_b32_e32 v47, 16, v8
	v_lshrrev_b32_e32 v48, 16, v9
	;; [unrolled: 1-line block ×4, first 2 shown]
	s_delay_alu instid0(VALU_DEP_4)
	v_mul_f16_e32 v51, v34, v47
	v_mul_f16_e32 v53, v19, v47
	;; [unrolled: 1-line block ×8, first 2 shown]
	v_fma_f16 v19, v19, v8, -v51
	v_fmac_f16_e32 v53, v34, v8
	v_fma_f16 v20, v20, v9, -v54
	v_fmac_f16_e32 v58, v35, v9
	;; [unrolled: 2-line block ×3, first 2 shown]
	v_fmac_f16_e32 v60, v36, v10
	v_fma_f16 v59, v23, v11, -v61
	v_add_f16_e32 v21, v18, v19
	v_add_f16_e32 v23, v20, v54
	v_sub_f16_e32 v61, v53, v62
	v_sub_f16_e32 v51, v19, v20
	;; [unrolled: 1-line block ×3, first 2 shown]
	v_add_f16_e32 v65, v19, v59
	v_sub_f16_e32 v66, v20, v19
	v_sub_f16_e32 v67, v54, v59
	v_add_f16_e32 v68, v50, v53
	v_add_f16_e32 v69, v58, v60
	v_sub_f16_e32 v70, v19, v59
	v_sub_f16_e32 v19, v53, v58
	;; [unrolled: 1-line block ×3, first 2 shown]
	v_add_f16_e32 v73, v53, v62
	v_sub_f16_e32 v53, v58, v53
	v_sub_f16_e32 v74, v60, v62
	s_wait_loadcnt 0x0
	v_lshrrev_b32_e32 v34, 16, v0
	v_lshrrev_b32_e32 v37, 16, v1
	;; [unrolled: 1-line block ×4, first 2 shown]
	v_sub_f16_e32 v63, v58, v60
	v_sub_f16_e32 v71, v20, v54
	v_add_f16_e32 v20, v21, v20
	v_fma_f16 v21, -0.5, v23, v18
	v_add_f16_e32 v64, v51, v64
	v_fmac_f16_e32 v18, -0.5, v65
	v_add_f16_e32 v65, v66, v67
	v_add_f16_e32 v58, v68, v58
	v_fma_f16 v51, -0.5, v69, v50
	v_add_f16_e32 v66, v19, v72
	v_fmac_f16_e32 v50, -0.5, v73
	v_add_f16_e32 v67, v53, v74
	v_mul_f16_e32 v19, v57, v34
	v_mul_f16_e32 v68, v17, v34
	;; [unrolled: 1-line block ×8, first 2 shown]
	v_add_f16_e32 v77, v20, v54
	v_fmamk_f16 v23, v63, 0xbb9c, v18
	v_fmac_f16_e32 v18, 0x3b9c, v63
	v_fmamk_f16 v53, v71, 0x3b9c, v50
	v_fmac_f16_e32 v50, 0xbb9c, v71
	v_fma_f16 v17, v17, v0, -v19
	v_fmac_f16_e32 v68, v57, v0
	v_fma_f16 v24, v24, v1, -v69
	;; [unrolled: 2-line block ×4, first 2 shown]
	v_fmac_f16_e32 v76, v26, v3
	v_fmamk_f16 v20, v61, 0x3b9c, v21
	v_fmac_f16_e32 v21, 0xbb9c, v61
	v_add_f16_e32 v58, v58, v60
	v_fmamk_f16 v54, v70, 0xbb9c, v51
	v_fmac_f16_e32 v51, 0x3b9c, v70
	v_add_f16_e32 v19, v77, v59
	v_fmac_f16_e32 v23, 0x38b4, v61
	v_fmac_f16_e32 v18, 0xb8b4, v61
	;; [unrolled: 1-line block ×4, first 2 shown]
	v_add_f16_e32 v26, v16, v17
	v_add_f16_e32 v55, v24, v25
	v_sub_f16_e32 v59, v17, v24
	v_sub_f16_e32 v60, v22, v25
	v_add_f16_e32 v61, v17, v22
	v_add_f16_e32 v69, v49, v68
	;; [unrolled: 1-line block ×5, first 2 shown]
	v_fmac_f16_e32 v54, 0xb8b4, v71
	v_fmac_f16_e32 v51, 0x38b4, v71
	v_sub_f16_e32 v57, v68, v76
	v_sub_f16_e32 v58, v72, v74
	;; [unrolled: 1-line block ×5, first 2 shown]
	v_fmac_f16_e32 v23, 0x34f2, v65
	v_fmac_f16_e32 v18, 0x34f2, v65
	v_add_f16_e32 v24, v26, v24
	v_fma_f16 v17, -0.5, v55, v16
	v_add_f16_e32 v65, v59, v60
	v_fmac_f16_e32 v16, -0.5, v61
	v_add_f16_e32 v59, v69, v72
	v_fma_f16 v55, -0.5, v70, v49
	v_fmac_f16_e32 v49, -0.5, v78
	v_fmac_f16_e32 v20, 0x38b4, v63
	v_fmac_f16_e32 v21, 0xb8b4, v63
	v_sub_f16_e32 v63, v25, v22
	v_sub_f16_e32 v75, v68, v72
	;; [unrolled: 1-line block ×5, first 2 shown]
	v_add_f16_e32 v24, v24, v25
	v_fmamk_f16 v25, v57, 0x3b9c, v17
	v_fmac_f16_e32 v17, 0xbb9c, v57
	v_fmamk_f16 v26, v58, 0xbb9c, v16
	v_fmac_f16_e32 v16, 0x3b9c, v58
	v_add_f16_e32 v61, v59, v74
	v_fmamk_f16 v60, v71, 0xbb9c, v55
	v_fmac_f16_e32 v55, 0x3b9c, v71
	v_fmamk_f16 v59, v73, 0x3b9c, v49
	v_fmac_f16_e32 v49, 0xbb9c, v73
	v_fmac_f16_e32 v20, 0x34f2, v64
	;; [unrolled: 1-line block ×4, first 2 shown]
	v_add_f16_e32 v62, v62, v63
	v_add_f16_e32 v63, v75, v77
	v_add_f16_e32 v66, v68, v79
	v_fmac_f16_e32 v25, 0x38b4, v58
	v_fmac_f16_e32 v17, 0xb8b4, v58
	;; [unrolled: 1-line block ×11, first 2 shown]
	v_pack_b32_f16 v64, v19, v52
	v_pack_b32_f16 v67, v20, v54
	v_add_f16_e32 v22, v24, v22
	v_add_f16_e32 v61, v61, v76
	v_fmac_f16_e32 v25, 0x34f2, v65
	v_fmac_f16_e32 v17, 0x34f2, v65
	v_fmac_f16_e32 v26, 0x34f2, v62
	v_fmac_f16_e32 v16, 0x34f2, v62
	v_fmac_f16_e32 v60, 0x34f2, v63
	v_fmac_f16_e32 v55, 0x34f2, v63
	v_fmac_f16_e32 v59, 0x34f2, v66
	v_fmac_f16_e32 v49, 0x34f2, v66
	v_pack_b32_f16 v68, v23, v53
	v_pack_b32_f16 v69, v18, v50
	;; [unrolled: 1-line block ×3, first 2 shown]
	ds_store_2addr_b32 v29, v64, v67 offset1:88
	ds_store_2addr_b32 v56, v68, v69 offset0:48 offset1:136
	ds_store_b32 v29, v70 offset:1408
	s_and_saveexec_b32 s1, s0
	s_cbranch_execz .LBB0_11
; %bb.10:
	v_perm_b32 v24, v61, v22, 0x5040100
	v_perm_b32 v56, v60, v25, 0x5040100
	;; [unrolled: 1-line block ×4, first 2 shown]
	v_add_nc_u32_e32 v62, 0x200, v29
	v_perm_b32 v63, v55, v17, 0x5040100
	ds_store_2addr_b32 v29, v24, v56 offset0:55 offset1:143
	ds_store_2addr_b32 v62, v57, v58 offset0:103 offset1:191
	ds_store_b32 v29, v63 offset:1628
.LBB0_11:
	s_wait_alu 0xfffe
	s_or_b32 exec_lo, exec_lo, s1
	global_wb scope:SCOPE_SE
	s_wait_dscnt 0x0
	s_barrier_signal -1
	s_barrier_wait -1
	global_inv scope:SCOPE_SE
	s_and_saveexec_b32 s1, vcc_lo
	s_cbranch_execz .LBB0_13
; %bb.12:
	global_load_b32 v24, v29, s[12:13] offset:1760
	s_add_nc_u64 s[2:3], s[12:13], 0x6e0
	s_clause 0x9
	global_load_b32 v58, v29, s[2:3] offset:160
	global_load_b32 v70, v29, s[2:3] offset:320
	;; [unrolled: 1-line block ×10, first 2 shown]
	ds_load_b32 v56, v29
	s_wait_dscnt 0x0
	v_lshrrev_b32_e32 v57, 16, v56
	s_wait_loadcnt 0x9
	v_lshrrev_b32_e32 v79, 16, v58
	s_wait_loadcnt 0x8
	;; [unrolled: 2-line block ×6, first 2 shown]
	v_lshrrev_b32_e32 v84, 16, v74
	v_lshrrev_b32_e32 v62, 16, v24
	s_wait_loadcnt 0x3
	v_lshrrev_b32_e32 v85, 16, v75
	s_wait_loadcnt 0x2
	;; [unrolled: 2-line block ×4, first 2 shown]
	v_lshrrev_b32_e32 v88, 16, v78
	v_mul_f16_e32 v63, v57, v62
	v_mul_f16_e32 v62, v56, v62
	s_delay_alu instid0(VALU_DEP_2) | instskip(NEXT) | instid1(VALU_DEP_2)
	v_fma_f16 v56, v56, v24, -v63
	v_fmac_f16_e32 v62, v57, v24
	s_delay_alu instid0(VALU_DEP_1)
	v_pack_b32_f16 v24, v56, v62
	ds_store_b32 v29, v24
	v_add_nc_u32_e32 v24, 0x400, v29
	ds_load_2addr_b32 v[56:57], v29 offset0:40 offset1:80
	ds_load_2addr_b32 v[62:63], v29 offset0:120 offset1:160
	;; [unrolled: 1-line block ×5, first 2 shown]
	s_wait_dscnt 0x4
	v_lshrrev_b32_e32 v89, 16, v56
	v_lshrrev_b32_e32 v91, 16, v57
	s_wait_dscnt 0x3
	v_lshrrev_b32_e32 v93, 16, v62
	v_lshrrev_b32_e32 v95, 16, v63
	;; [unrolled: 3-line block ×5, first 2 shown]
	v_mul_f16_e32 v90, v56, v79
	v_mul_f16_e32 v92, v57, v80
	;; [unrolled: 1-line block ×20, first 2 shown]
	v_fmac_f16_e32 v90, v89, v58
	v_fmac_f16_e32 v92, v91, v70
	v_fma_f16 v56, v56, v58, -v79
	v_fma_f16 v57, v57, v70, -v80
	v_fmac_f16_e32 v94, v93, v71
	v_fmac_f16_e32 v96, v95, v72
	v_fma_f16 v58, v62, v71, -v81
	v_fma_f16 v62, v63, v72, -v82
	;; [unrolled: 4-line block ×5, first 2 shown]
	v_pack_b32_f16 v56, v56, v90
	v_pack_b32_f16 v57, v57, v92
	;; [unrolled: 1-line block ×10, first 2 shown]
	ds_store_2addr_b32 v29, v56, v57 offset0:40 offset1:80
	ds_store_2addr_b32 v29, v58, v62 offset0:120 offset1:160
	;; [unrolled: 1-line block ×5, first 2 shown]
.LBB0_13:
	s_wait_alu 0xfffe
	s_or_b32 exec_lo, exec_lo, s1
	global_wb scope:SCOPE_SE
	s_wait_dscnt 0x0
	s_barrier_signal -1
	s_barrier_wait -1
	global_inv scope:SCOPE_SE
	s_and_saveexec_b32 s1, vcc_lo
	s_cbranch_execz .LBB0_15
; %bb.14:
	ds_load_2addr_b32 v[19:20], v29 offset1:40
	ds_load_2addr_b32 v[23:24], v29 offset0:80 offset1:120
	v_add_nc_u32_e32 v16, 0x200, v29
	v_add_nc_u32_e32 v17, 0x400, v29
	ds_load_2addr_b32 v[21:22], v29 offset0:160 offset1:200
	s_wait_dscnt 0x2
	v_lshrrev_b32_e32 v52, 16, v19
	s_wait_dscnt 0x1
	v_mov_b32_e32 v18, v24
	ds_load_b32 v31, v29 offset:1600
	ds_load_2addr_b32 v[25:26], v16 offset0:112 offset1:152
	ds_load_2addr_b32 v[16:17], v17 offset0:64 offset1:104
	v_lshrrev_b32_e32 v54, 16, v20
	v_lshrrev_b32_e32 v53, 16, v23
	;; [unrolled: 1-line block ×3, first 2 shown]
	s_wait_dscnt 0x3
	v_lshrrev_b32_e32 v51, 16, v21
	v_lshrrev_b32_e32 v61, 16, v22
	s_wait_dscnt 0x2
	v_lshrrev_b32_e32 v32, 16, v31
	s_wait_dscnt 0x1
	v_lshrrev_b32_e32 v60, 16, v25
	v_lshrrev_b32_e32 v59, 16, v26
	s_wait_dscnt 0x0
	v_lshrrev_b32_e32 v49, 16, v16
	v_lshrrev_b32_e32 v55, 16, v17
.LBB0_15:
	s_wait_alu 0xfffe
	s_or_b32 exec_lo, exec_lo, s1
	v_sub_f16_e32 v70, v54, v32
	v_add_f16_e32 v74, v32, v54
	v_add_f16_e32 v62, v31, v20
	v_sub_f16_e32 v64, v20, v31
	v_add_f16_e32 v75, v55, v53
	v_mul_f16_e32 v78, 0xbb47, v70
	v_sub_f16_e32 v72, v53, v55
	v_mul_f16_e32 v85, 0x36a6, v74
	v_add_f16_e32 v63, v17, v23
	v_mul_f16_e32 v88, 0xbbeb, v70
	v_fma_f16 v24, v62, 0x36a6, -v78
	v_mul_f16_e32 v91, 0xb08e, v74
	v_mul_f16_e32 v79, 0xba0c, v72
	v_fmamk_f16 v56, v64, 0xbb47, v85
	v_sub_f16_e32 v65, v23, v17
	v_mul_f16_e32 v86, 0xb93d, v75
	v_add_f16_e32 v80, v49, v50
	v_fma_f16 v57, v62, 0xb08e, -v88
	v_add_f16_e32 v24, v19, v24
	v_fmamk_f16 v58, v64, 0xbbeb, v91
	v_fma_f16 v66, v63, 0xb93d, -v79
	v_add_f16_e32 v56, v52, v56
	v_fmamk_f16 v68, v65, 0xba0c, v86
	v_sub_f16_e32 v76, v50, v49
	v_mul_f16_e32 v93, 0x3482, v72
	v_mul_f16_e32 v96, 0xbbad, v75
	v_sub_f16_e32 v67, v18, v16
	v_mul_f16_e32 v87, 0xbbad, v80
	v_add_f16_e32 v57, v19, v57
	v_add_f16_e32 v58, v52, v58
	;; [unrolled: 1-line block ×4, first 2 shown]
	v_mul_f16_e32 v84, 0x3482, v76
	v_fma_f16 v69, v63, 0xbbad, -v93
	v_fmamk_f16 v71, v65, 0x3482, v96
	v_add_f16_e32 v56, v68, v56
	v_fmamk_f16 v68, v67, 0x3482, v87
	v_mul_f16_e32 v94, 0x3b47, v76
	v_sub_f16_e32 v77, v51, v59
	v_fma_f16 v73, v66, 0xbbad, -v84
	v_add_f16_e32 v57, v69, v57
	v_add_f16_e32 v58, v71, v58
	;; [unrolled: 1-line block ×4, first 2 shown]
	v_fma_f16 v71, v66, 0x36a6, -v94
	v_add_f16_e32 v68, v26, v21
	v_mul_f16_e32 v89, 0x3beb, v77
	v_mul_f16_e32 v97, 0xb853, v77
	v_add_f16_e32 v24, v73, v24
	v_mul_f16_e32 v98, 0x36a6, v80
	v_sub_f16_e32 v69, v21, v26
	v_mul_f16_e32 v92, 0xb08e, v83
	v_fma_f16 v81, v68, 0xb08e, -v89
	v_add_f16_e32 v57, v71, v57
	v_fma_f16 v82, v68, 0x3abb, -v97
	v_fmamk_f16 v73, v67, 0x3b47, v98
	v_fmamk_f16 v71, v69, 0x3beb, v92
	v_add_f16_e32 v24, v81, v24
	v_mul_f16_e32 v100, 0x3abb, v83
	v_add_f16_e32 v57, v82, v57
	v_sub_f16_e32 v81, v61, v60
	v_add_f16_e32 v82, v60, v61
	v_add_f16_e32 v58, v73, v58
	;; [unrolled: 1-line block ×3, first 2 shown]
	v_fmamk_f16 v56, v69, 0xb853, v100
	v_add_f16_e32 v71, v25, v22
	v_sub_f16_e32 v73, v22, v25
	v_mul_f16_e32 v90, 0x3853, v81
	v_mul_f16_e32 v95, 0x3abb, v82
	;; [unrolled: 1-line block ×4, first 2 shown]
	v_add_f16_e32 v103, v56, v58
	v_fma_f16 v56, v71, 0x3abb, -v90
	v_fmamk_f16 v58, v73, 0x3853, v95
	v_fma_f16 v104, v71, 0xb93d, -v99
	v_fmamk_f16 v105, v73, 0xba0c, v101
	global_wb scope:SCOPE_SE
	v_add_f16_e32 v56, v56, v24
	v_add_f16_e32 v58, v58, v102
	;; [unrolled: 1-line block ×4, first 2 shown]
	s_barrier_signal -1
	s_barrier_wait -1
	global_inv scope:SCOPE_SE
	s_and_saveexec_b32 s1, vcc_lo
	s_cbranch_execz .LBB0_17
; %bb.16:
	v_mul_f16_e32 v112, 0xba0c, v64
	v_mul_f16_e32 v118, 0x3beb, v65
	;; [unrolled: 1-line block ×5, first 2 shown]
	v_fmamk_f16 v117, v74, 0xb93d, v112
	v_fmamk_f16 v122, v75, 0xb08e, v118
	v_mul_f16_e32 v107, 0xba0c, v65
	v_mul_f16_e32 v127, 0xb482, v69
	v_sub_f16_e32 v85, v85, v103
	v_add_f16_e32 v117, v52, v117
	v_mul_f16_e32 v126, 0xba0c, v70
	v_mul_f16_e32 v102, 0x36a6, v62
	;; [unrolled: 1-line block ×4, first 2 shown]
	v_add_f16_e32 v117, v122, v117
	v_fmamk_f16 v122, v80, 0x3abb, v123
	v_mul_f16_e64 v131, 0x3b47, v73
	v_add_f16_e32 v88, v104, v88
	v_add_f16_e32 v85, v52, v85
	v_sub_f16_e32 v86, v86, v107
	v_add_f16_e32 v117, v122, v117
	v_fmamk_f16 v122, v83, 0xbbad, v127
	v_fma_f16 v129, v62, 0xb93d, -v126
	v_mul_f16_e64 v130, 0x3beb, v72
	v_mul_f16_e32 v106, 0xb93d, v63
	v_mul_f16_e32 v113, 0x36a6, v66
	;; [unrolled: 1-line block ×3, first 2 shown]
	v_add_f16_e32 v117, v122, v117
	v_fma_f16 v122, 0x36a6, v82, v131
	v_mul_f16_e64 v134, 0xb482, v64
	v_add_f16_e32 v88, v19, v88
	v_add_f16_e32 v93, v108, v93
	;; [unrolled: 1-line block ×4, first 2 shown]
	v_sub_f16_e32 v86, v87, v111
	v_add_f16_e64 v129, v19, v129
	v_fma_f16 v132, v63, 0xb08e, -v130
	v_mul_f16_e64 v133, 0xb853, v76
	v_mul_f16_e32 v110, 0xbbad, v66
	v_mul_f16_e32 v119, 0x3abb, v68
	;; [unrolled: 1-line block ×3, first 2 shown]
	v_add_f16_e32 v117, v122, v117
	v_fma_f16 v122, 0xbbad, v74, v134
	v_mul_f16_e64 v136, 0x3853, v65
	v_fma_f16 v134, v74, 0xbbad, -v134
	v_fma_f16 v112, v74, 0xb93d, -v112
	v_add_f16_e32 v88, v93, v88
	v_add_f16_e32 v93, v113, v94
	;; [unrolled: 1-line block ×5, first 2 shown]
	v_sub_f16_e32 v86, v92, v116
	v_mul_f16_e32 v74, 0x3abb, v74
	v_add_f16_e64 v129, v132, v129
	v_fma_f16 v132, v66, 0x3abb, -v133
	v_mul_f16_e64 v135, 0xb482, v77
	v_mul_f16_e32 v115, 0xb08e, v68
	v_mul_f16_e32 v125, 0xb93d, v71
	v_add_f16_e32 v122, v52, v122
	v_fma_f16 v138, 0x3abb, v75, v136
	v_mul_f16_e64 v139, 0xba0c, v67
	v_add_f16_e64 v134, v52, v134
	v_fma_f16 v136, v75, 0x3abb, -v136
	v_add_f16_e32 v112, v52, v112
	v_fma_f16 v118, v75, 0xb08e, -v118
	v_add_f16_e32 v88, v93, v88
	v_add_f16_e32 v93, v119, v97
	;; [unrolled: 1-line block ×5, first 2 shown]
	v_sub_f16_e32 v85, v95, v124
	v_fmamk_f16 v86, v64, 0x3853, v74
	v_mul_f16_e32 v75, 0x36a6, v75
	v_add_f16_e64 v129, v132, v129
	v_fma_f16 v132, v68, 0xbbad, -v135
	v_mul_f16_e64 v137, 0x3b47, v81
	v_mul_f16_e32 v121, 0x3abb, v71
	v_mul_f16_e64 v140, 0xb482, v70
	v_add_f16_e64 v122, v138, v122
	v_fma_f16 v138, 0xb93d, v80, v139
	v_mul_f16_e64 v141, 0x3b47, v69
	v_add_f16_e64 v134, v136, v134
	v_fma_f16 v136, v80, 0xb93d, -v139
	v_add_f16_e32 v112, v118, v112
	v_fma_f16 v118, v80, 0x3abb, -v123
	v_add_f16_e32 v87, v93, v88
	v_add_f16_e32 v88, v125, v99
	;; [unrolled: 1-line block ×6, first 2 shown]
	v_fmamk_f16 v86, v65, 0x3b47, v75
	v_mul_f16_e32 v80, 0xb08e, v80
	v_mul_f16_e32 v70, 0xb853, v70
	v_add_f16_e32 v20, v20, v19
	v_add_f16_e32 v54, v54, v52
	v_add_f16_e64 v129, v132, v129
	v_fma_f16 v132, v71, 0x36a6, -v137
	v_mul_f16_e64 v142, 0x3853, v72
	v_add_f16_e64 v122, v138, v122
	v_fma_f16 v138, 0x36a6, v83, v141
	v_add_f16_e64 v134, v136, v134
	v_fma_f16 v136, v83, 0x36a6, -v141
	v_add_f16_e32 v112, v118, v112
	v_fma_f16 v118, v83, 0xbbad, -v127
	v_add_f16_e32 v87, v88, v87
	v_add_f16_e32 v78, v79, v78
	;; [unrolled: 1-line block ×4, first 2 shown]
	v_fmamk_f16 v86, v67, 0x3beb, v80
	v_mul_f16_e32 v83, 0xb93d, v83
	v_fmamk_f16 v88, v62, 0x3abb, v70
	v_mul_f16_e32 v72, 0xbb47, v72
	v_add_f16_e32 v20, v23, v20
	v_add_f16_e32 v23, v53, v54
	v_add_f16_e64 v129, v132, v129
	v_fma_f16 v132, v62, 0xbbad, -v140
	v_mul_f16_e64 v145, 0xba0c, v76
	v_add_f16_e32 v78, v79, v78
	v_add_f16_e32 v79, v86, v85
	v_fmamk_f16 v85, v69, 0x3a0c, v83
	v_add_f16_e32 v86, v19, v88
	v_fmamk_f16 v88, v63, 0x36a6, v72
	v_mul_f16_e32 v76, 0xbbeb, v76
	v_add_f16_e32 v18, v18, v20
	v_add_f16_e32 v20, v50, v23
	v_mul_f16_e64 v143, 0xbbeb, v73
	v_add_f16_e64 v132, v19, v132
	v_fma_f16 v144, v63, 0x3abb, -v142
	v_add_f16_e32 v79, v85, v79
	v_add_f16_e32 v85, v88, v86
	v_fmamk_f16 v86, v66, 0xb08e, v76
	v_mul_f16_e32 v53, 0xba0c, v77
	v_add_f16_e32 v18, v21, v18
	v_add_f16_e32 v20, v51, v20
	v_mul_f16_e32 v105, 0xbbeb, v64
	v_add_f16_e64 v122, v138, v122
	v_fma_f16 v138, 0xb08e, v82, v143
	v_add_f16_e64 v132, v144, v132
	v_fma_f16 v144, v66, 0xb93d, -v145
	v_mul_f16_e64 v146, 0x3b47, v77
	v_add_f16_e32 v77, v86, v85
	v_fmamk_f16 v23, v68, 0xb93d, v53
	v_mul_f16_e32 v50, 0xb482, v81
	v_add_f16_e32 v18, v22, v18
	v_add_f16_e32 v20, v61, v20
	v_mul_f16_e32 v109, 0x3482, v65
	v_sub_f16_e32 v91, v91, v105
	v_add_f16_e64 v122, v138, v122
	v_add_f16_e64 v132, v144, v132
	v_fma_f16 v138, v68, 0x36a6, -v146
	v_mul_f16_e64 v144, 0xbbeb, v81
	v_fmac_f16_e64 v140, 0xbbad, v62
	v_fmac_f16_e32 v126, 0xb93d, v62
	v_add_f16_e32 v21, v23, v77
	v_fmamk_f16 v23, v71, 0xbbad, v50
	v_fmac_f16_e32 v74, 0xb853, v64
	v_fma_f16 v22, v62, 0x3abb, -v70
	v_add_f16_e32 v18, v25, v18
	v_add_f16_e32 v20, v60, v20
	v_mul_f16_e32 v114, 0x3b47, v67
	v_add_f16_e32 v91, v52, v91
	v_sub_f16_e32 v96, v96, v109
	v_add_f16_e64 v132, v138, v132
	v_fma_f16 v138, v71, 0xb08e, -v144
	v_add_f16_e64 v139, v19, v140
	v_fmac_f16_e64 v142, 0x3abb, v63
	v_add_f16_e32 v126, v19, v126
	v_fmac_f16_e64 v130, 0xb08e, v63
	v_add_f16_e32 v21, v23, v21
	v_add_f16_e32 v23, v52, v74
	v_fmac_f16_e32 v75, 0xbb47, v65
	v_add_f16_e32 v19, v19, v22
	v_fma_f16 v22, v63, 0x36a6, -v72
	v_add_f16_e32 v18, v26, v18
	v_add_f16_e32 v20, v59, v20
	v_mul_f16_e32 v120, 0xb853, v69
	v_add_f16_e32 v91, v96, v91
	v_sub_f16_e32 v96, v98, v114
	v_add_f16_e64 v132, v138, v132
	v_add_f16_e64 v138, v142, v139
	v_fmac_f16_e64 v145, 0xb93d, v66
	v_add_f16_e64 v105, v130, v126
	v_fmac_f16_e64 v133, 0x3abb, v66
	v_mul_f16_e32 v54, 0xbbad, v82
	v_add_f16_e32 v23, v75, v23
	v_fmac_f16_e32 v80, 0xbbeb, v67
	v_add_f16_e32 v19, v22, v19
	v_fma_f16 v22, v66, 0xb08e, -v76
	v_add_f16_e32 v16, v16, v18
	v_add_f16_e32 v18, v49, v20
	v_mul_f16_e64 v128, 0xba0c, v73
	v_add_f16_e32 v91, v96, v91
	v_sub_f16_e32 v96, v100, v120
	v_add_f16_e64 v138, v145, v138
	v_fmac_f16_e64 v146, 0x36a6, v68
	v_add_f16_e64 v105, v133, v105
	v_fmac_f16_e64 v135, 0xbbad, v68
	v_fmamk_f16 v81, v73, 0x3482, v54
	v_add_f16_e32 v20, v80, v23
	v_fmac_f16_e32 v83, 0xba0c, v69
	v_add_f16_e32 v19, v22, v19
	v_fma_f16 v22, v68, 0xb93d, -v53
	v_add_f16_e32 v16, v17, v16
	v_add_f16_e32 v17, v55, v18
	;; [unrolled: 1-line block ×3, first 2 shown]
	v_sub_f16_e64 v94, v101, v128
	v_add_f16_e64 v134, v136, v134
	v_fma_f16 v136, v82, 0xb08e, -v143
	v_add_f16_e64 v123, v146, v138
	v_fmac_f16_e64 v144, 0xb08e, v71
	v_add_f16_e32 v112, v118, v112
	v_fma_f16 v118, v82, 0x36a6, -v131
	v_add_f16_e64 v98, v135, v105
	v_fmac_f16_e64 v137, 0x36a6, v71
	v_add_f16_e32 v51, v81, v79
	v_add_f16_e32 v18, v83, v20
	v_fmac_f16_e32 v54, 0xb482, v73
	v_add_f16_e32 v19, v22, v19
	v_fma_f16 v20, v71, 0xbbad, -v50
	v_and_b32_e32 v22, 0xffff, v30
	v_add_f16_e32 v16, v31, v16
	v_add_f16_e32 v17, v32, v17
	;; [unrolled: 1-line block ×3, first 2 shown]
	v_add_f16_e64 v134, v136, v134
	v_add_f16_e64 v123, v144, v123
	v_add_f16_e32 v109, v118, v112
	v_add_f16_e64 v98, v137, v98
	v_add_f16_e32 v18, v54, v18
	v_add_f16_e32 v19, v20, v19
	v_lshlrev_b32_e32 v20, 2, v22
	v_pack_b32_f16 v21, v21, v51
	v_pack_b32_f16 v16, v16, v17
	;; [unrolled: 1-line block ×8, first 2 shown]
	v_perm_b32 v31, v58, v56, 0x5040100
	v_perm_b32 v32, v57, v24, 0x5040100
	v_pack_b32_f16 v18, v19, v18
	ds_store_2addr_b32 v20, v16, v21 offset1:1
	ds_store_2addr_b32 v20, v22, v17 offset0:2 offset1:3
	ds_store_2addr_b32 v20, v25, v23 offset0:4 offset1:5
	;; [unrolled: 1-line block ×4, first 2 shown]
	ds_store_b32 v20, v18 offset:40
.LBB0_17:
	s_wait_alu 0xfffe
	s_or_b32 exec_lo, exec_lo, s1
	global_wb scope:SCOPE_SE
	s_wait_dscnt 0x0
	s_barrier_signal -1
	s_barrier_wait -1
	global_inv scope:SCOPE_SE
	ds_load_2addr_b32 v[17:18], v29 offset1:55
	ds_load_2addr_b32 v[19:20], v29 offset0:110 offset1:165
	v_add_nc_u32_e32 v16, 0x200, v29
	v_add_nc_u32_e32 v23, 0x400, v29
	ds_load_2addr_b32 v[21:22], v16 offset0:92 offset1:147
	ds_load_2addr_b32 v[25:26], v23 offset0:74 offset1:129
	global_wb scope:SCOPE_SE
	s_wait_dscnt 0x0
	s_barrier_signal -1
	s_barrier_wait -1
	global_inv scope:SCOPE_SE
	v_lshrrev_b32_e32 v30, 16, v18
	v_lshrrev_b32_e32 v31, 16, v19
	;; [unrolled: 1-line block ×3, first 2 shown]
	v_mul_f16_e32 v49, v46, v18
	v_mul_f16_e32 v50, v44, v19
	v_mul_f16_e32 v46, v46, v30
	v_lshrrev_b32_e32 v52, 16, v21
	v_lshrrev_b32_e32 v53, 16, v22
	v_mul_f16_e32 v51, v43, v20
	v_lshrrev_b32_e32 v54, 16, v25
	v_lshrrev_b32_e32 v55, 16, v26
	v_fma_f16 v30, v4, v30, -v49
	v_mul_f16_e32 v44, v44, v31
	v_fma_f16 v31, v5, v31, -v50
	v_mul_f16_e32 v43, v43, v32
	v_mul_f16_e32 v49, v40, v21
	;; [unrolled: 1-line block ×3, first 2 shown]
	v_fmac_f16_e32 v46, v4, v18
	v_mul_f16_e32 v4, v40, v52
	v_mul_f16_e32 v18, v41, v53
	v_fma_f16 v32, v6, v32, -v51
	v_fmac_f16_e32 v44, v5, v19
	v_fmac_f16_e32 v43, v6, v20
	v_fma_f16 v5, v7, v52, -v49
	v_fmac_f16_e32 v4, v7, v21
	v_fmac_f16_e32 v18, v12, v22
	v_mul_f16_e32 v6, v39, v54
	v_fma_f16 v7, v12, v53, -v50
	v_mul_f16_e32 v12, v39, v25
	v_mul_f16_e32 v19, v38, v55
	;; [unrolled: 1-line block ×3, first 2 shown]
	v_lshrrev_b32_e32 v23, 16, v17
	v_fmac_f16_e32 v6, v13, v25
	v_sub_f16_e32 v4, v17, v4
	v_fma_f16 v12, v13, v54, -v12
	v_fmac_f16_e32 v19, v14, v26
	v_fma_f16 v13, v14, v55, -v20
	v_sub_f16_e32 v5, v23, v5
	v_fma_f16 v14, v17, 2.0, -v4
	v_sub_f16_e32 v6, v44, v6
	v_sub_f16_e32 v12, v31, v12
	;; [unrolled: 1-line block ×6, first 2 shown]
	v_fma_f16 v18, v23, 2.0, -v5
	v_fma_f16 v20, v44, 2.0, -v6
	;; [unrolled: 1-line block ×7, first 2 shown]
	v_sub_f16_e32 v20, v14, v20
	v_sub_f16_e32 v21, v18, v21
	v_add_f16_e32 v12, v4, v12
	v_sub_f16_e32 v6, v5, v6
	v_sub_f16_e32 v25, v22, v25
	v_add_f16_e32 v13, v17, v13
	v_sub_f16_e32 v26, v23, v26
	v_sub_f16_e32 v19, v7, v19
	v_fma_f16 v30, v14, 2.0, -v20
	v_fma_f16 v18, v18, 2.0, -v21
	;; [unrolled: 1-line block ×8, first 2 shown]
	v_fmamk_f16 v23, v13, 0x39a8, v12
	v_sub_f16_e32 v22, v30, v4
	v_fmamk_f16 v4, v5, 0xb9a8, v31
	v_sub_f16_e32 v38, v18, v14
	;; [unrolled: 2-line block ×3, first 2 shown]
	v_fmac_f16_e32 v23, 0x39a8, v19
	v_fmac_f16_e32 v4, 0x39a8, v7
	v_fma_f16 v7, v18, 2.0, -v38
	v_fmamk_f16 v18, v19, 0x39a8, v6
	v_fmac_f16_e32 v14, 0xb9a8, v5
	v_add_f16_e32 v5, v20, v26
	v_fma_f16 v30, v30, 2.0, -v22
	v_fma_f16 v31, v31, 2.0, -v4
	v_fmac_f16_e32 v18, 0xb9a8, v13
	v_fma_f16 v13, v32, 2.0, -v14
	v_fma_f16 v19, v20, 2.0, -v5
	;; [unrolled: 1-line block ×5, first 2 shown]
	v_pack_b32_f16 v7, v30, v7
	v_pack_b32_f16 v13, v31, v13
	;; [unrolled: 1-line block ×8, first 2 shown]
	ds_store_2addr_b32 v33, v7, v13 offset1:11
	ds_store_2addr_b32 v33, v19, v6 offset0:22 offset1:33
	ds_store_2addr_b32 v33, v12, v20 offset0:44 offset1:55
	;; [unrolled: 1-line block ×3, first 2 shown]
	global_wb scope:SCOPE_SE
	s_wait_dscnt 0x0
	s_barrier_signal -1
	s_barrier_wait -1
	global_inv scope:SCOPE_SE
	ds_load_2addr_b32 v[6:7], v29 offset1:88
	ds_load_2addr_b32 v[12:13], v16 offset0:48 offset1:136
	ds_load_b32 v19, v29 offset:1408
	s_and_saveexec_b32 s1, s0
	s_cbranch_execz .LBB0_19
; %bb.18:
	ds_load_2addr_b32 v[4:5], v29 offset0:55 offset1:143
	ds_load_2addr_b32 v[23:24], v16 offset0:103 offset1:191
	ds_load_b32 v56, v29 offset:1628
	s_wait_dscnt 0x2
	v_lshrrev_b32_e32 v14, 16, v4
	v_lshrrev_b32_e32 v17, 16, v5
	s_wait_dscnt 0x1
	v_lshrrev_b32_e32 v18, 16, v23
	v_lshrrev_b32_e32 v57, 16, v24
	s_wait_dscnt 0x0
	v_lshrrev_b32_e32 v58, 16, v56
.LBB0_19:
	s_wait_alu 0xfffe
	s_or_b32 exec_lo, exec_lo, s1
	s_wait_dscnt 0x1
	v_lshrrev_b32_e32 v20, 16, v12
	v_lshrrev_b32_e32 v21, 16, v13
	;; [unrolled: 1-line block ×3, first 2 shown]
	s_wait_dscnt 0x0
	v_lshrrev_b32_e32 v25, 16, v19
	v_mul_f16_e32 v31, v47, v7
	v_mul_f16_e32 v26, v48, v20
	;; [unrolled: 1-line block ×5, first 2 shown]
	v_fma_f16 v22, v8, v22, -v31
	v_fmac_f16_e32 v26, v9, v12
	v_mul_f16_e32 v12, v42, v19
	v_fmac_f16_e32 v30, v10, v13
	v_fmac_f16_e32 v33, v8, v7
	v_mul_f16_e32 v13, v45, v13
	v_fma_f16 v9, v9, v20, -v32
	v_fma_f16 v8, v11, v25, -v12
	v_mul_f16_e32 v12, v42, v25
	v_add_f16_e32 v7, v26, v30
	v_add_f16_e32 v20, v6, v33
	v_fma_f16 v10, v10, v21, -v13
	v_sub_f16_e32 v25, v22, v8
	v_fmac_f16_e32 v12, v11, v19
	v_fma_f16 v7, -0.5, v7, v6
	v_add_f16_e32 v13, v20, v26
	v_sub_f16_e32 v21, v9, v10
	v_sub_f16_e32 v31, v33, v26
	v_add_f16_e32 v20, v33, v12
	v_fmamk_f16 v19, v25, 0xbb9c, v7
	v_sub_f16_e32 v32, v12, v30
	v_fmac_f16_e32 v7, 0x3b9c, v25
	v_lshrrev_b32_e32 v11, 16, v6
	v_fmac_f16_e32 v6, -0.5, v20
	v_fmac_f16_e32 v19, 0xb8b4, v21
	v_add_f16_e32 v20, v31, v32
	v_fmac_f16_e32 v7, 0x38b4, v21
	v_add_f16_e32 v13, v13, v30
	v_fmamk_f16 v31, v21, 0x3b9c, v6
	v_fmac_f16_e32 v6, 0xbb9c, v21
	v_fmac_f16_e32 v19, 0x34f2, v20
	;; [unrolled: 1-line block ×3, first 2 shown]
	v_add_f16_e32 v20, v9, v10
	v_fmac_f16_e32 v31, 0xb8b4, v25
	v_sub_f16_e32 v32, v26, v33
	v_sub_f16_e32 v38, v30, v12
	v_add_f16_e32 v21, v11, v22
	v_fmac_f16_e32 v6, 0x38b4, v25
	v_add_f16_e32 v25, v22, v8
	v_add_f16_e32 v13, v13, v12
	v_fma_f16 v20, -0.5, v20, v11
	v_sub_f16_e32 v12, v33, v12
	v_add_f16_e32 v32, v32, v38
	v_add_f16_e32 v21, v21, v9
	v_sub_f16_e32 v26, v26, v30
	v_fmac_f16_e32 v11, -0.5, v25
	v_fmamk_f16 v33, v12, 0x3b9c, v20
	v_sub_f16_e32 v25, v22, v9
	v_sub_f16_e32 v30, v8, v10
	v_fmac_f16_e32 v31, 0x34f2, v32
	v_fmac_f16_e32 v6, 0x34f2, v32
	v_add_f16_e32 v21, v21, v10
	v_fmamk_f16 v32, v26, 0xbb9c, v11
	v_sub_f16_e32 v9, v9, v22
	v_sub_f16_e32 v10, v10, v8
	v_fmac_f16_e32 v11, 0x3b9c, v26
	v_fmac_f16_e32 v20, 0xbb9c, v12
	;; [unrolled: 1-line block ×3, first 2 shown]
	v_add_f16_e32 v22, v25, v30
	v_fmac_f16_e32 v32, 0x38b4, v12
	v_add_f16_e32 v9, v9, v10
	v_fmac_f16_e32 v11, 0xb8b4, v12
	v_fmac_f16_e32 v20, 0xb8b4, v26
	v_add_f16_e32 v8, v21, v8
	v_fmac_f16_e32 v33, 0x34f2, v22
	v_fmac_f16_e32 v32, 0x34f2, v9
	;; [unrolled: 1-line block ×4, first 2 shown]
	v_pack_b32_f16 v8, v13, v8
	v_pack_b32_f16 v9, v19, v33
	;; [unrolled: 1-line block ×5, first 2 shown]
	ds_store_2addr_b32 v29, v8, v9 offset1:88
	ds_store_2addr_b32 v16, v10, v6 offset0:48 offset1:136
	ds_store_b32 v29, v7 offset:1408
	s_and_saveexec_b32 s1, s0
	s_cbranch_execz .LBB0_21
; %bb.20:
	v_mul_f16_e32 v6, v37, v23
	v_mul_f16_e32 v7, v34, v5
	;; [unrolled: 1-line block ×5, first 2 shown]
	v_fma_f16 v6, v1, v18, -v6
	v_fma_f16 v7, v0, v17, -v7
	;; [unrolled: 1-line block ×3, first 2 shown]
	v_mul_f16_e32 v10, v37, v18
	v_mul_f16_e32 v11, v36, v57
	;; [unrolled: 1-line block ×3, first 2 shown]
	v_fmac_f16_e32 v12, v0, v5
	v_fma_f16 v0, v2, v57, -v9
	v_fmac_f16_e32 v10, v1, v23
	v_fmac_f16_e32 v11, v2, v24
	;; [unrolled: 1-line block ×3, first 2 shown]
	v_sub_f16_e32 v3, v6, v7
	v_sub_f16_e32 v9, v0, v8
	v_add_f16_e32 v16, v8, v7
	v_add_f16_e32 v22, v0, v6
	v_sub_f16_e32 v19, v11, v13
	v_add_f16_e32 v5, v13, v12
	v_add_f16_e32 v3, v9, v3
	v_sub_f16_e32 v9, v10, v12
	v_fma_f16 v1, -0.5, v16, v14
	v_sub_f16_e32 v16, v12, v13
	v_fma_f16 v5, -0.5, v5, v4
	v_sub_f16_e32 v21, v7, v8
	v_add_f16_e32 v9, v19, v9
	v_add_f16_e32 v19, v11, v10
	v_fma_f16 v22, -0.5, v22, v14
	v_sub_f16_e32 v23, v7, v6
	v_add_f16_e32 v7, v7, v14
	v_sub_f16_e32 v2, v10, v11
	v_fma_f16 v19, -0.5, v19, v4
	v_add_f16_e32 v4, v4, v12
	v_sub_f16_e32 v18, v6, v0
	v_sub_f16_e32 v24, v8, v0
	v_fmamk_f16 v14, v16, 0x3b9c, v22
	v_sub_f16_e32 v25, v12, v10
	v_sub_f16_e32 v26, v13, v11
	v_fmamk_f16 v30, v21, 0xbb9c, v19
	v_add_f16_e32 v6, v6, v7
	v_add_f16_e32 v4, v10, v4
	v_fmamk_f16 v17, v2, 0xbb9c, v1
	v_fmamk_f16 v20, v18, 0x3b9c, v5
	v_fmac_f16_e32 v1, 0x3b9c, v2
	v_fmac_f16_e32 v5, 0xbb9c, v18
	;; [unrolled: 1-line block ×4, first 2 shown]
	v_add_f16_e32 v7, v24, v23
	v_fmac_f16_e32 v14, 0x38b4, v2
	v_add_f16_e32 v23, v26, v25
	v_fmac_f16_e32 v30, 0xb8b4, v18
	v_add_f16_e32 v0, v0, v6
	v_add_f16_e32 v4, v11, v4
	v_fmac_f16_e32 v17, 0x38b4, v16
	v_fmac_f16_e32 v20, 0xb8b4, v21
	;; [unrolled: 1-line block ×8, first 2 shown]
	v_add_f16_e32 v0, v8, v0
	v_add_f16_e32 v2, v13, v4
	v_fmac_f16_e32 v17, 0x34f2, v3
	v_fmac_f16_e32 v20, 0x34f2, v9
	;; [unrolled: 1-line block ×6, first 2 shown]
	v_pack_b32_f16 v0, v2, v0
	v_pack_b32_f16 v2, v30, v14
	v_pack_b32_f16 v3, v20, v17
	v_pack_b32_f16 v1, v5, v1
	v_add_nc_u32_e32 v4, 0x200, v29
	v_pack_b32_f16 v5, v19, v22
	ds_store_2addr_b32 v29, v0, v2 offset0:55 offset1:143
	ds_store_2addr_b32 v4, v3, v1 offset0:103 offset1:191
	ds_store_b32 v29, v5 offset:1628
.LBB0_21:
	s_wait_alu 0xfffe
	s_or_b32 exec_lo, exec_lo, s1
	global_wb scope:SCOPE_SE
	s_wait_dscnt 0x0
	s_barrier_signal -1
	s_barrier_wait -1
	global_inv scope:SCOPE_SE
	s_and_b32 exec_lo, exec_lo, vcc_lo
	s_cbranch_execz .LBB0_23
; %bb.22:
	s_clause 0x6
	global_load_b32 v0, v29, s[12:13]
	global_load_b32 v2, v29, s[12:13] offset:160
	global_load_b32 v7, v29, s[12:13] offset:320
	;; [unrolled: 1-line block ×6, first 2 shown]
	ds_load_2addr_b32 v[12:13], v29 offset0:40 offset1:80
	ds_load_b32 v24, v29
	v_mad_co_u64_u32 v[10:11], null, s22, v15, 0
	v_mad_co_u64_u32 v[16:17], null, s20, v28, 0
	v_add_nc_u32_e32 v1, 0x400, v29
	s_mov_b32 s26, 0x29e4129e
	s_mov_b32 s27, 0x3f629e41
	ds_load_2addr_b32 v[18:19], v29 offset0:120 offset1:160
	ds_load_2addr_b32 v[20:21], v29 offset0:200 offset1:240
	s_clause 0x3
	global_load_b32 v3, v29, s[12:13] offset:1120
	global_load_b32 v4, v29, s[12:13] offset:1280
	;; [unrolled: 1-line block ×4, first 2 shown]
	s_mul_u64 s[24:25], s[20:21], 0xa0
	v_mov_b32_e32 v14, v17
	s_wait_dscnt 0x3
	v_mad_co_u64_u32 v[22:23], null, s23, v15, v[11:12]
	s_delay_alu instid0(VALU_DEP_2)
	v_mad_co_u64_u32 v[14:15], null, s21, v28, v[14:15]
	s_wait_dscnt 0x2
	v_lshrrev_b32_e32 v15, 16, v24
	v_lshrrev_b32_e32 v23, 16, v12
	;; [unrolled: 1-line block ×3, first 2 shown]
	v_mov_b32_e32 v11, v22
	s_wait_dscnt 0x1
	v_lshrrev_b32_e32 v31, 16, v19
	v_mov_b32_e32 v17, v14
	s_wait_dscnt 0x0
	v_lshrrev_b32_e32 v32, 16, v20
	v_lshrrev_b32_e32 v30, 16, v18
	v_lshrrev_b32_e32 v41, 16, v21
	s_wait_loadcnt 0xa
	v_lshrrev_b32_e32 v22, 16, v0
	s_wait_loadcnt 0x9
	v_lshrrev_b32_e32 v14, 16, v2
	;; [unrolled: 2-line block ×5, first 2 shown]
	v_mul_f16_e32 v28, v15, v22
	v_mul_f16_e32 v22, v24, v22
	;; [unrolled: 1-line block ×4, first 2 shown]
	s_wait_loadcnt 0x5
	v_lshrrev_b32_e32 v35, 16, v26
	v_fmac_f16_e32 v28, v24, v0
	v_mul_f16_e32 v24, v23, v14
	v_fma_f16 v0, v0, v15, -v22
	v_fmac_f16_e32 v37, v13, v7
	v_mul_f16_e32 v38, v30, v33
	v_cvt_f32_f16_e32 v14, v28
	v_fmac_f16_e32 v24, v12, v2
	v_cvt_f32_f16_e32 v0, v0
	v_mul_f16_e32 v28, v13, v29
	v_fma_f16 v2, v2, v23, -v36
	v_cvt_f64_f32_e32 v[14:15], v14
	v_cvt_f32_f16_e32 v22, v24
	v_cvt_f64_f32_e32 v[12:13], v0
	v_fma_f16 v7, v7, v25, -v28
	v_cvt_f32_f16_e32 v0, v2
	v_mul_f16_e32 v2, v31, v34
	v_mul_f16_e32 v34, v19, v34
	v_cvt_f64_f32_e32 v[22:23], v22
	v_cvt_f32_f16_e32 v28, v37
	v_cvt_f64_f32_e32 v[24:25], v0
	v_mul_f16_e32 v0, v32, v35
	v_fmac_f16_e32 v2, v19, v9
	v_fma_f16 v9, v9, v31, -v34
	v_mul_f16_e32 v35, v20, v35
	v_mul_f16_e32 v33, v18, v33
	v_fmac_f16_e32 v0, v20, v26
	v_fmac_f16_e32 v38, v18, v8
	v_cvt_f32_f16_e32 v9, v9
	v_fma_f16 v20, v26, v32, -v35
	v_cvt_f32_f16_e32 v7, v7
	v_cvt_f32_f16_e32 v0, v0
	v_cvt_f64_f32_e32 v[28:29], v28
	v_cvt_f64_f32_e32 v[34:35], v9
	v_fma_f16 v18, v8, v30, -v33
	v_cvt_f32_f16_e32 v30, v38
	v_cvt_f64_f32_e32 v[36:37], v0
	v_cvt_f64_f32_e32 v[7:8], v7
	v_cvt_f32_f16_e32 v2, v2
	v_cvt_f32_f16_e32 v31, v18
	v_cvt_f64_f32_e32 v[18:19], v30
	v_cvt_f32_f16_e32 v20, v20
	s_delay_alu instid0(VALU_DEP_4) | instskip(NEXT) | instid1(VALU_DEP_4)
	v_cvt_f64_f32_e32 v[32:33], v2
	v_cvt_f64_f32_e32 v[30:31], v31
	s_delay_alu instid0(VALU_DEP_3) | instskip(SKIP_3) | instid1(VALU_DEP_2)
	v_cvt_f64_f32_e32 v[38:39], v20
	s_wait_loadcnt 0x4
	v_lshrrev_b32_e32 v20, 16, v40
	v_mul_f64_e32 v[14:15], s[26:27], v[14:15]
	v_mul_f16_e32 v26, v21, v20
	s_delay_alu instid0(VALU_DEP_1) | instskip(NEXT) | instid1(VALU_DEP_1)
	v_fma_f16 v26, v40, v41, -v26
	v_cvt_f32_f16_e32 v26, v26
	v_mul_f64_e32 v[28:29], s[26:27], v[28:29]
	v_mul_f64_e32 v[34:35], s[26:27], v[34:35]
	;; [unrolled: 1-line block ×8, first 2 shown]
	v_bfe_u32 v44, v15, 20, 11
	s_delay_alu instid0(VALU_DEP_1) | instskip(SKIP_2) | instid1(VALU_DEP_1)
	v_sub_nc_u32_e32 v65, 0x3f1, v44
	v_add_nc_u32_e32 v44, 0xfffffc10, v44
	v_lshlrev_b64_e32 v[10:11], 2, v[10:11]
	v_add_co_u32 v0, vcc_lo, s4, v10
	v_mul_f64_e32 v[9:10], s[26:27], v[12:13]
	s_delay_alu instid0(VALU_DEP_3)
	v_add_co_ci_u32_e32 v2, vcc_lo, s5, v11, vcc_lo
	v_mul_f64_e32 v[11:12], s[26:27], v[22:23]
	v_mul_f64_e32 v[22:23], s[26:27], v[24:25]
	v_mul_f16_e32 v13, v41, v20
	v_and_or_b32 v28, 0x1ff, v29, v28
	v_and_or_b32 v34, 0x1ff, v35, v34
	v_bfe_u32 v52, v29, 20, 11
	v_lshrrev_b32_e32 v51, 8, v29
	v_fmac_f16_e32 v13, v21, v40
	v_and_or_b32 v7, 0x1ff, v8, v7
	v_and_or_b32 v36, 0x1ff, v37, v36
	v_bfe_u32 v54, v8, 20, 11
	v_and_or_b32 v18, 0x1ff, v19, v18
	v_cvt_f32_f16_e32 v13, v13
	v_lshrrev_b32_e32 v53, 8, v8
	v_and_or_b32 v32, 0x1ff, v33, v32
	v_and_or_b32 v30, 0x1ff, v31, v30
	v_bfe_u32 v56, v19, 20, 11
	v_cvt_f64_f32_e32 v[42:43], v13
	v_and_or_b32 v13, 0x1ff, v15, v14
	v_lshrrev_b32_e32 v14, 8, v15
	v_and_or_b32 v38, 0x1ff, v39, v38
	v_bfe_u32 v58, v31, 20, 11
	v_sub_nc_u32_e32 v69, 0x3f1, v52
	v_sub_nc_u32_e32 v70, 0x3f1, v54
	v_lshrrev_b32_e32 v55, 8, v19
	v_lshrrev_b32_e32 v57, 8, v31
	v_bfe_u32 v60, v33, 20, 11
	v_bfe_u32 v62, v35, 20, 11
	v_sub_nc_u32_e32 v71, 0x3f1, v56
	v_sub_nc_u32_e32 v72, 0x3f1, v58
	v_lshrrev_b32_e32 v59, 8, v33
	v_lshrrev_b32_e32 v61, 8, v35
	v_bfe_u32 v64, v37, 20, 11
	v_sub_nc_u32_e32 v73, 0x3f1, v60
	v_sub_nc_u32_e32 v74, 0x3f1, v62
	v_bfe_u32 v46, v10, 20, 11
	v_and_or_b32 v9, 0x1ff, v10, v9
	v_lshrrev_b32_e32 v45, 8, v10
	v_and_or_b32 v11, 0x1ff, v12, v11
	v_and_or_b32 v22, 0x1ff, v23, v22
	v_sub_nc_u32_e32 v66, 0x3f1, v46
	v_add_nc_u32_e32 v46, 0xfffffc10, v46
	v_lshlrev_b64_e32 v[16:17], 2, v[16:17]
	v_lshrrev_b32_e32 v47, 8, v12
	v_bfe_u32 v48, v12, 20, 11
	v_bfe_u32 v50, v23, 20, 11
	v_lshrrev_b32_e32 v49, 8, v23
	v_lshrrev_b32_e32 v63, 8, v37
	v_add_co_u32 v16, vcc_lo, v0, v16
	s_wait_alu 0xfffd
	v_add_co_ci_u32_e32 v17, vcc_lo, v2, v17, vcc_lo
	v_sub_nc_u32_e32 v67, 0x3f1, v48
	s_delay_alu instid0(VALU_DEP_3) | instskip(SKIP_1) | instid1(VALU_DEP_3)
	v_add_co_u32 v24, vcc_lo, v16, s24
	s_wait_alu 0xfffd
	v_add_co_ci_u32_e32 v25, vcc_lo, s25, v17, vcc_lo
	v_sub_nc_u32_e32 v68, 0x3f1, v50
	s_delay_alu instid0(VALU_DEP_3) | instskip(SKIP_1) | instid1(VALU_DEP_3)
	;; [unrolled: 5-line block ×3, first 2 shown]
	v_add_co_u32 v40, vcc_lo, v20, s24
	s_wait_alu 0xfffd
	v_add_co_ci_u32_e32 v41, vcc_lo, s25, v21, vcc_lo
	v_cmp_ne_u32_e32 vcc_lo, 0, v13
	v_lshrrev_b32_e32 v10, 16, v10
	v_lshrrev_b32_e32 v12, 16, v12
	;; [unrolled: 1-line block ×4, first 2 shown]
	s_wait_alu 0xfffd
	v_cndmask_b32_e64 v13, 0, 1, vcc_lo
	v_cmp_ne_u32_e32 vcc_lo, 0, v9
	v_lshrrev_b32_e32 v23, 16, v23
	v_lshrrev_b32_e32 v8, 16, v8
	;; [unrolled: 1-line block ×3, first 2 shown]
	v_and_or_b32 v13, 0xffe, v14, v13
	s_wait_alu 0xfffd
	v_cndmask_b32_e64 v9, 0, 1, vcc_lo
	v_cmp_ne_u32_e32 vcc_lo, 0, v11
	v_med3_i32 v14, v65, 0, 13
	v_lshrrev_b32_e32 v31, 16, v31
	v_or_b32_e32 v65, 0x1000, v13
	v_and_or_b32 v9, 0xffe, v45, v9
	s_wait_alu 0xfffd
	v_cndmask_b32_e64 v11, 0, 1, vcc_lo
	v_cmp_ne_u32_e32 vcc_lo, 0, v22
	v_med3_i32 v45, v66, 0, 13
	v_lshl_or_b32 v66, v44, 12, v13
	v_lshrrev_b32_e32 v87, v14, v65
	v_and_or_b32 v11, 0xffe, v47, v11
	s_wait_alu 0xfffd
	v_cndmask_b32_e64 v22, 0, 1, vcc_lo
	v_cmp_ne_u32_e32 vcc_lo, 0, v28
	v_med3_i32 v47, v67, 0, 13
	v_or_b32_e32 v67, 0x1000, v9
	v_lshlrev_b32_e32 v14, v14, v87
	v_and_or_b32 v22, 0xffe, v49, v22
	s_wait_alu 0xfffd
	v_cndmask_b32_e64 v28, 0, 1, vcc_lo
	v_cmp_ne_u32_e32 vcc_lo, 0, v7
	v_med3_i32 v49, v68, 0, 13
	v_lshl_or_b32 v68, v46, 12, v9
	v_add_nc_u32_e32 v48, 0xfffffc10, v48
	v_and_or_b32 v28, 0xffe, v51, v28
	s_wait_alu 0xfffd
	v_cndmask_b32_e64 v7, 0, 1, vcc_lo
	v_cmp_ne_u32_e32 vcc_lo, 0, v18
	v_med3_i32 v51, v69, 0, 13
	v_or_b32_e32 v69, 0x1000, v11
	v_lshrrev_b32_e32 v88, v45, v67
	v_and_or_b32 v7, 0xffe, v53, v7
	s_wait_alu 0xfffd
	v_cndmask_b32_e64 v18, 0, 1, vcc_lo
	v_cmp_ne_u32_e32 vcc_lo, 0, v30
	v_med3_i32 v53, v70, 0, 13
	v_lshl_or_b32 v70, v48, 12, v11
	v_add_nc_u32_e32 v50, 0xfffffc10, v50
	v_and_or_b32 v18, 0xffe, v55, v18
	s_wait_alu 0xfffd
	v_cndmask_b32_e64 v30, 0, 1, vcc_lo
	v_cmp_ne_u32_e32 vcc_lo, 0, v32
	v_med3_i32 v55, v71, 0, 13
	v_or_b32_e32 v71, 0x1000, v22
	v_or_b32_e32 v77, 0x1000, v18
	v_and_or_b32 v30, 0xffe, v57, v30
	s_wait_alu 0xfffd
	v_cndmask_b32_e64 v32, 0, 1, vcc_lo
	v_cmp_ne_u32_e32 vcc_lo, 0, v34
	v_med3_i32 v57, v72, 0, 13
	v_lshl_or_b32 v72, v50, 12, v22
	v_add_nc_u32_e32 v52, 0xfffffc10, v52
	v_and_or_b32 v32, 0xffe, v59, v32
	s_wait_alu 0xfffd
	v_cndmask_b32_e64 v34, 0, 1, vcc_lo
	v_cmp_ne_u32_e32 vcc_lo, 0, v36
	v_med3_i32 v59, v73, 0, 13
	v_or_b32_e32 v73, 0x1000, v28
	v_or_b32_e32 v79, 0x1000, v30
	v_and_or_b32 v34, 0xffe, v61, v34
	s_wait_alu 0xfffd
	v_cndmask_b32_e64 v36, 0, 1, vcc_lo
	v_cmp_ne_u32_e32 vcc_lo, 0, v38
	v_med3_i32 v61, v74, 0, 13
	v_lshl_or_b32 v74, v52, 12, v28
	v_add_nc_u32_e32 v54, 0xfffffc10, v54
	v_and_or_b32 v36, 0xffe, v63, v36
	s_wait_alu 0xfffd
	v_cndmask_b32_e64 v38, 0, 1, vcc_lo
	v_cmp_ne_u32_e32 vcc_lo, 0, v13
	v_med3_i32 v63, v75, 0, 13
	v_or_b32_e32 v75, 0x1000, v7
	v_lshl_or_b32 v76, v54, 12, v7
	v_add_nc_u32_e32 v56, 0xfffffc10, v56
	s_wait_alu 0xfffd
	v_cndmask_b32_e64 v13, 0, 1, vcc_lo
	v_cmp_ne_u32_e32 vcc_lo, 0, v9
	v_or_b32_e32 v81, 0x1000, v32
	v_or_b32_e32 v83, 0x1000, v34
	v_lshl_or_b32 v78, v56, 12, v18
	v_add_nc_u32_e32 v58, 0xfffffc10, v58
	s_wait_alu 0xfffd
	v_cndmask_b32_e64 v9, 0, 1, vcc_lo
	v_cmp_ne_u32_e32 vcc_lo, 0, v11
	v_lshrrev_b32_e32 v89, v47, v69
	v_lshrrev_b32_e32 v90, v49, v71
	v_lshl_or_b32 v80, v58, 12, v30
	v_add_nc_u32_e32 v60, 0xfffffc10, v60
	s_wait_alu 0xfffd
	v_cndmask_b32_e64 v11, 0, 1, vcc_lo
	v_cmp_ne_u32_e32 vcc_lo, 0, v22
	v_lshlrev_b32_e32 v47, v47, v89
	v_lshrrev_b32_e32 v91, v51, v73
	v_lshl_or_b32 v82, v60, 12, v32
	v_add_nc_u32_e32 v62, 0xfffffc10, v62
	s_wait_alu 0xfffd
	v_cndmask_b32_e64 v22, 0, 1, vcc_lo
	v_cmp_ne_u32_e32 vcc_lo, 0, v28
	v_lshrrev_b32_e32 v92, v53, v75
	v_lshrrev_b32_e32 v93, v55, v77
	v_lshl_or_b32 v84, v62, 12, v34
	v_lshl_or_b32 v22, v22, 9, 0x7c00
	s_wait_alu 0xfffd
	v_cndmask_b32_e64 v28, 0, 1, vcc_lo
	v_cmp_ne_u32_e32 vcc_lo, 0, v7
	v_lshlrev_b32_e32 v51, v51, v91
	v_lshrrev_b32_e32 v94, v57, v79
	v_lshrrev_b32_e32 v95, v59, v81
	v_lshl_or_b32 v28, v28, 9, 0x7c00
	s_wait_alu 0xfffd
	v_cndmask_b32_e64 v7, 0, 1, vcc_lo
	v_cmp_ne_u32_e32 vcc_lo, 0, v18
	v_lshlrev_b32_e32 v49, v49, v90
	v_or_b32_e32 v85, 0x1000, v36
	v_lshrrev_b32_e32 v96, v61, v83
	v_lshl_or_b32 v11, v11, 9, 0x7c00
	s_wait_alu 0xfffd
	v_cndmask_b32_e64 v18, 0, 1, vcc_lo
	v_cmp_ne_u32_e32 vcc_lo, 0, v30
	v_lshrrev_b32_e32 v97, v63, v85
	v_lshlrev_b32_e32 v61, v61, v96
	v_lshl_or_b32 v13, v13, 9, 0x7c00
	v_lshl_or_b32 v18, v18, 9, 0x7c00
	s_wait_alu 0xfffd
	v_cndmask_b32_e64 v30, 0, 1, vcc_lo
	v_cmp_ne_u32_e32 vcc_lo, 0, v32
	v_lshlrev_b32_e32 v53, v53, v92
	v_lshlrev_b32_e32 v63, v63, v97
	v_lshl_or_b32 v9, v9, 9, 0x7c00
	v_lshl_or_b32 v30, v30, 9, 0x7c00
	s_wait_alu 0xfffd
	v_cndmask_b32_e64 v32, 0, 1, vcc_lo
	v_cmp_ne_u32_e32 vcc_lo, 0, v34
	v_lshlrev_b32_e32 v55, v55, v93
	v_lshl_or_b32 v7, v7, 9, 0x7c00
	v_lshrrev_b32_e32 v33, 16, v33
	v_lshl_or_b32 v32, v32, 9, 0x7c00
	s_wait_alu 0xfffd
	v_cndmask_b32_e64 v34, 0, 1, vcc_lo
	v_cmp_ne_u32_e32 vcc_lo, v14, v65
	v_lshlrev_b32_e32 v57, v57, v94
	s_delay_alu instid0(VALU_DEP_3) | instskip(SKIP_3) | instid1(VALU_DEP_2)
	v_lshl_or_b32 v34, v34, 9, 0x7c00
	s_wait_alu 0xfffd
	v_cndmask_b32_e64 v14, 0, 1, vcc_lo
	v_lshlrev_b32_e32 v59, v59, v95
	v_or_b32_e32 v14, v87, v14
	v_lshlrev_b32_e32 v45, v45, v88
	s_delay_alu instid0(VALU_DEP_1) | instskip(SKIP_3) | instid1(VALU_DEP_2)
	v_cmp_ne_u32_e32 vcc_lo, v45, v67
	s_wait_alu 0xfffd
	v_cndmask_b32_e64 v45, 0, 1, vcc_lo
	v_cmp_ne_u32_e32 vcc_lo, v47, v69
	v_or_b32_e32 v45, v88, v45
	s_wait_alu 0xfffd
	v_cndmask_b32_e64 v47, 0, 1, vcc_lo
	v_cmp_ne_u32_e32 vcc_lo, v49, v71
	s_delay_alu instid0(VALU_DEP_2) | instskip(SKIP_3) | instid1(VALU_DEP_2)
	v_or_b32_e32 v47, v89, v47
	s_wait_alu 0xfffd
	v_cndmask_b32_e64 v49, 0, 1, vcc_lo
	v_cmp_ne_u32_e32 vcc_lo, v51, v73
	v_or_b32_e32 v49, v90, v49
	s_wait_alu 0xfffd
	v_cndmask_b32_e64 v51, 0, 1, vcc_lo
	v_cmp_ne_u32_e32 vcc_lo, v53, v75
	s_delay_alu instid0(VALU_DEP_2) | instskip(SKIP_3) | instid1(VALU_DEP_2)
	v_or_b32_e32 v51, v91, v51
	;; [unrolled: 9-line block ×4, first 2 shown]
	s_wait_alu 0xfffd
	v_cndmask_b32_e64 v61, 0, 1, vcc_lo
	v_cmp_ne_u32_e32 vcc_lo, v63, v85
	v_or_b32_e32 v61, v96, v61
	s_wait_alu 0xfffd
	v_cndmask_b32_e64 v63, 0, 1, vcc_lo
	v_cmp_gt_i32_e32 vcc_lo, 1, v44
	s_delay_alu instid0(VALU_DEP_2) | instskip(SKIP_3) | instid1(VALU_DEP_2)
	v_or_b32_e32 v63, v97, v63
	s_wait_alu 0xfffd
	v_cndmask_b32_e32 v14, v66, v14, vcc_lo
	v_cmp_gt_i32_e32 vcc_lo, 1, v46
	v_and_b32_e32 v65, 7, v14
	s_wait_alu 0xfffd
	v_cndmask_b32_e32 v45, v68, v45, vcc_lo
	v_cmp_gt_i32_e32 vcc_lo, 1, v48
	v_lshrrev_b32_e32 v14, 2, v14
	v_cmp_eq_u32_e64 s0, 3, v65
	s_wait_alu 0xfffd
	v_dual_cndmask_b32 v47, v70, v47 :: v_dual_and_b32 v66, 7, v45
	v_cmp_gt_i32_e32 vcc_lo, 1, v50
	v_lshrrev_b32_e32 v45, 2, v45
	s_delay_alu instid0(VALU_DEP_3) | instskip(NEXT) | instid1(VALU_DEP_4)
	v_cmp_lt_i32_e64 s1, 5, v66
	v_and_b32_e32 v67, 7, v47
	s_wait_alu 0xfffd
	v_cndmask_b32_e32 v49, v72, v49, vcc_lo
	v_cmp_gt_i32_e32 vcc_lo, 1, v52
	v_cmp_eq_u32_e64 s2, 3, v66
	v_lshrrev_b32_e32 v47, 2, v47
	v_cmp_lt_i32_e64 s3, 5, v67
	s_wait_alu 0xfffd
	v_dual_cndmask_b32 v51, v74, v51 :: v_dual_and_b32 v68, 7, v49
	v_cmp_gt_i32_e32 vcc_lo, 1, v54
	v_cmp_eq_u32_e64 s4, 3, v67
	v_lshrrev_b32_e32 v49, 2, v49
	s_delay_alu instid0(VALU_DEP_4)
	v_cmp_lt_i32_e64 s5, 5, v68
	v_and_b32_e32 v69, 7, v51
	s_wait_alu 0xfffd
	v_cndmask_b32_e32 v53, v76, v53, vcc_lo
	v_cmp_gt_i32_e32 vcc_lo, 1, v56
	v_cmp_eq_u32_e64 s6, 3, v68
	v_lshrrev_b32_e32 v51, 2, v51
	v_cmp_lt_i32_e64 s7, 5, v69
	s_wait_alu 0xfffd
	v_dual_cndmask_b32 v55, v78, v55 :: v_dual_and_b32 v70, 7, v53
	v_cmp_gt_i32_e32 vcc_lo, 1, v58
	v_cmp_eq_u32_e64 s8, 3, v69
	v_lshrrev_b32_e32 v53, 2, v53
	s_delay_alu instid0(VALU_DEP_4)
	v_cmp_lt_i32_e64 s9, 5, v70
	v_and_b32_e32 v71, 7, v55
	s_wait_alu 0xfffd
	v_cndmask_b32_e32 v57, v80, v57, vcc_lo
	v_cmp_gt_i32_e32 vcc_lo, 1, v60
	v_cmp_eq_u32_e64 s10, 3, v70
	v_lshrrev_b32_e32 v55, 2, v55
	v_cmp_lt_i32_e64 s11, 5, v71
	s_wait_alu 0xfffd
	v_dual_cndmask_b32 v59, v82, v59 :: v_dual_and_b32 v72, 7, v57
	v_cmp_gt_i32_e32 vcc_lo, 1, v62
	v_add_nc_u32_e32 v64, 0xfffffc10, v64
	v_cmp_eq_u32_e64 s12, 3, v71
	s_delay_alu instid0(VALU_DEP_4)
	v_cmp_lt_i32_e64 s13, 5, v72
	v_and_b32_e32 v73, 7, v59
	s_wait_alu 0xfffd
	v_cndmask_b32_e32 v61, v84, v61, vcc_lo
	v_cmp_lt_i32_e32 vcc_lo, 5, v65
	v_cmp_eq_u32_e64 s14, 3, v72
	v_lshrrev_b32_e32 v57, 2, v57
	v_cmp_lt_i32_e64 s15, 5, v73
	v_and_b32_e32 v74, 7, v61
	s_or_b32 vcc_lo, s0, vcc_lo
	v_cmp_eq_u32_e64 s16, 3, v73
	s_wait_alu 0xfffe
	v_add_co_ci_u32_e32 v14, vcc_lo, 0, v14, vcc_lo
	s_or_b32 vcc_lo, s2, s1
	v_lshrrev_b32_e32 v59, 2, v59
	s_wait_alu 0xfffe
	v_add_co_ci_u32_e32 v45, vcc_lo, 0, v45, vcc_lo
	s_or_b32 vcc_lo, s4, s3
	v_cmp_lt_i32_e64 s17, 5, v74
	s_wait_alu 0xfffe
	v_add_co_ci_u32_e32 v47, vcc_lo, 0, v47, vcc_lo
	s_or_b32 vcc_lo, s6, s5
	v_cmp_eq_u32_e64 s18, 3, v74
	s_wait_alu 0xfffe
	v_add_co_ci_u32_e32 v49, vcc_lo, 0, v49, vcc_lo
	s_or_b32 vcc_lo, s8, s7
	v_lshrrev_b32_e32 v61, 2, v61
	s_wait_alu 0xfffe
	v_add_co_ci_u32_e32 v51, vcc_lo, 0, v51, vcc_lo
	s_or_b32 vcc_lo, s10, s9
	v_lshl_or_b32 v86, v64, 12, v36
	s_wait_alu 0xfffe
	v_add_co_ci_u32_e32 v53, vcc_lo, 0, v53, vcc_lo
	s_or_b32 vcc_lo, s12, s11
	s_wait_alu 0xfffe
	v_add_co_ci_u32_e32 v55, vcc_lo, 0, v55, vcc_lo
	s_or_b32 vcc_lo, s14, s13
	;; [unrolled: 3-line block ×4, first 2 shown]
	s_wait_alu 0xfffe
	v_add_co_ci_u32_e32 v61, vcc_lo, 0, v61, vcc_lo
	v_cmp_gt_i32_e32 vcc_lo, 31, v44
	s_wait_alu 0xfffd
	v_cndmask_b32_e32 v14, 0x7c00, v14, vcc_lo
	v_cmp_gt_i32_e32 vcc_lo, 31, v46
	s_wait_alu 0xfffd
	v_cndmask_b32_e32 v45, 0x7c00, v45, vcc_lo
	;; [unrolled: 3-line block ×10, first 2 shown]
	v_cmp_eq_u32_e32 vcc_lo, 0x40f, v44
	s_wait_alu 0xfffd
	v_cndmask_b32_e32 v13, v14, v13, vcc_lo
	v_cmp_eq_u32_e32 vcc_lo, 0x40f, v46
	s_wait_alu 0xfffd
	v_cndmask_b32_e32 v9, v45, v9, vcc_lo
	v_cmp_eq_u32_e32 vcc_lo, 0x40f, v48
	s_delay_alu instid0(VALU_DEP_2) | instskip(SKIP_3) | instid1(VALU_DEP_2)
	v_and_or_b32 v9, 0x8000, v10, v9
	s_wait_alu 0xfffd
	v_cndmask_b32_e32 v11, v47, v11, vcc_lo
	v_cmp_eq_u32_e32 vcc_lo, 0x40f, v50
	v_and_or_b32 v10, 0x8000, v12, v11
	s_wait_alu 0xfffd
	v_cndmask_b32_e32 v14, v49, v22, vcc_lo
	v_cmp_eq_u32_e32 vcc_lo, 0x40f, v52
	s_delay_alu instid0(VALU_DEP_3)
	v_and_b32_e32 v10, 0xffff, v10
	v_and_or_b32 v13, 0x8000, v15, v13
	s_wait_alu 0xfffd
	v_cndmask_b32_e32 v22, v51, v28, vcc_lo
	v_cmp_eq_u32_e32 vcc_lo, 0x40f, v54
	v_and_or_b32 v11, 0x8000, v23, v14
	v_lshrrev_b32_e32 v15, 8, v39
	v_and_b32_e32 v13, 0xffff, v13
	v_and_or_b32 v12, 0x8000, v29, v22
	s_wait_alu 0xfffd
	v_cndmask_b32_e32 v7, v53, v7, vcc_lo
	v_cmp_eq_u32_e32 vcc_lo, 0x40f, v56
	v_lshl_or_b32 v10, v11, 16, v10
	v_lshl_or_b32 v9, v9, 16, v13
	v_and_b32_e32 v12, 0xffff, v12
	v_and_or_b32 v7, 0x8000, v8, v7
	s_wait_alu 0xfffd
	v_cndmask_b32_e32 v18, v55, v18, vcc_lo
	v_cmp_eq_u32_e32 vcc_lo, 0x40f, v58
	s_wait_loadcnt 0x3
	v_lshrrev_b32_e32 v23, 16, v3
	v_lshl_or_b32 v7, v7, 16, v12
	v_and_or_b32 v8, 0x8000, v19, v18
	s_wait_alu 0xfffd
	v_cndmask_b32_e32 v28, v57, v30, vcc_lo
	v_cmp_eq_u32_e32 vcc_lo, 0x40f, v60
	s_clause 0x2
	global_store_b32 v[16:17], v9, off
	global_store_b32 v[24:25], v10, off
	;; [unrolled: 1-line block ×3, first 2 shown]
	v_mul_f64_e32 v[9:10], s[26:27], v[42:43]
	v_and_b32_e32 v8, 0xffff, v8
	v_and_or_b32 v14, 0x8000, v31, v28
	s_wait_alu 0xfffd
	v_cndmask_b32_e32 v30, v59, v32, vcc_lo
	v_cmp_eq_u32_e32 vcc_lo, 0x40f, v62
	v_bfe_u32 v16, v39, 20, 11
	v_cvt_f64_f32_e32 v[11:12], v26
	v_lshl_or_b32 v14, v14, 16, v8
	ds_load_2addr_b32 v[7:8], v1 offset0:24 offset1:64
	s_wait_alu 0xfffd
	v_cndmask_b32_e32 v32, v61, v34, vcc_lo
	v_cmp_gt_i32_e32 vcc_lo, 1, v64
	v_and_or_b32 v13, 0x8000, v33, v30
	v_lshrrev_b32_e32 v17, 16, v35
	v_and_or_b32 v19, 0xffe, v15, v38
	v_sub_nc_u32_e32 v15, 0x3f1, v16
	s_wait_alu 0xfffd
	v_dual_cndmask_b32 v18, v86, v63 :: v_dual_and_b32 v13, 0xffff, v13
	v_and_or_b32 v17, 0x8000, v17, v32
	v_or_b32_e32 v21, 0x1000, v19
	v_med3_i32 v15, v15, 0, 13
	s_delay_alu instid0(VALU_DEP_4)
	v_and_b32_e32 v20, 7, v18
	v_lshrrev_b32_e32 v18, 2, v18
	v_lshl_or_b32 v22, v17, 16, v13
	v_add_co_u32 v13, s1, v40, s24
	v_lshrrev_b32_e32 v17, v15, v21
	v_cmp_lt_i32_e32 vcc_lo, 5, v20
	v_cmp_eq_u32_e64 s0, 3, v20
	s_wait_dscnt 0x0
	v_lshrrev_b32_e32 v20, 16, v7
	global_store_b32 v[40:41], v14, off
	v_lshlrev_b32_e32 v15, v15, v17
	s_wait_alu 0xf1ff
	v_add_co_ci_u32_e64 v14, s1, s25, v41, s1
	s_or_b32 vcc_lo, s0, vcc_lo
	v_mul_f16_e32 v24, v20, v23
	s_wait_alu 0xfffe
	v_add_co_ci_u32_e32 v18, vcc_lo, 0, v18, vcc_lo
	v_cmp_ne_u32_e32 vcc_lo, v15, v21
	v_add_nc_u32_e32 v21, 0xfffffc10, v16
	v_fmac_f16_e32 v24, v7, v3
	v_and_or_b32 v9, 0x1ff, v10, v9
	v_bfe_u32 v26, v10, 20, 11
	s_wait_alu 0xfffd
	v_cndmask_b32_e64 v15, 0, 1, vcc_lo
	v_cmp_ne_u32_e32 vcc_lo, 0, v36
	v_cvt_f32_f16_e32 v16, v24
	v_lshl_or_b32 v24, v21, 12, v19
	v_mul_f64_e32 v[11:12], s[26:27], v[11:12]
	v_or_b32_e32 v17, v17, v15
	s_wait_alu 0xfffd
	v_cndmask_b32_e64 v25, 0, 1, vcc_lo
	v_cmp_gt_i32_e32 vcc_lo, 1, v21
	v_cvt_f64_f32_e32 v[15:16], v16
	v_mul_f16_e32 v7, v7, v23
	v_add_nc_u32_e32 v23, 0xfffffc10, v26
	v_lshl_or_b32 v25, v25, 9, 0x7c00
	s_wait_alu 0xfffd
	v_cndmask_b32_e32 v17, v24, v17, vcc_lo
	v_cmp_ne_u32_e32 vcc_lo, 0, v9
	v_lshrrev_b32_e32 v24, 8, v10
	v_fma_f16 v3, v3, v20, -v7
	global_store_b32 v[13:14], v22, off
	v_and_b32_e32 v28, 7, v17
	s_wait_alu 0xfffd
	v_cndmask_b32_e64 v9, 0, 1, vcc_lo
	v_cmp_gt_i32_e32 vcc_lo, 31, v64
	v_lshrrev_b32_e32 v17, 2, v17
	v_cvt_f32_f16_e32 v3, v3
	v_cmp_eq_u32_e64 s0, 3, v28
	v_and_or_b32 v9, 0xffe, v24, v9
	s_wait_alu 0xfffd
	v_cndmask_b32_e32 v18, 0x7c00, v18, vcc_lo
	v_cmp_eq_u32_e32 vcc_lo, 0x40f, v64
	v_sub_nc_u32_e32 v24, 0x3f1, v26
	v_lshrrev_b32_e32 v22, 16, v8
	v_or_b32_e32 v29, 0x1000, v9
	v_add_co_u32 v13, s1, v13, s24
	s_wait_alu 0xfffd
	v_cndmask_b32_e32 v18, v18, v25, vcc_lo
	v_cmp_lt_i32_e32 vcc_lo, 5, v28
	v_med3_i32 v24, v24, 0, 13
	v_lshrrev_b32_e32 v25, 16, v37
	s_wait_alu 0xf1ff
	v_add_co_ci_u32_e64 v14, s1, s25, v14, s1
	s_or_b32 vcc_lo, s0, vcc_lo
	v_lshrrev_b32_e32 v28, v24, v29
	s_wait_alu 0xfffe
	v_add_co_ci_u32_e32 v17, vcc_lo, 0, v17, vcc_lo
	v_cmp_ne_u32_e32 vcc_lo, 0, v19
	v_and_or_b32 v25, 0x8000, v25, v18
	v_lshlrev_b32_e32 v7, v24, v28
	v_and_or_b32 v11, 0x1ff, v12, v11
	v_lshrrev_b32_e32 v24, 16, v39
	s_wait_alu 0xfffd
	v_cndmask_b32_e64 v18, 0, 1, vcc_lo
	v_cmp_gt_i32_e32 vcc_lo, 31, v21
	v_mul_f64_e32 v[15:16], s[26:27], v[15:16]
	v_lshrrev_b32_e32 v31, 16, v10
	s_delay_alu instid0(VALU_DEP_4)
	v_lshl_or_b32 v20, v18, 9, 0x7c00
	s_wait_alu 0xfffd
	v_cndmask_b32_e32 v19, 0x7c00, v17, vcc_lo
	v_cvt_f64_f32_e32 v[17:18], v3
	v_cmp_ne_u32_e32 vcc_lo, v7, v29
	s_wait_alu 0xfffd
	v_cndmask_b32_e64 v7, 0, 1, vcc_lo
	v_cmp_eq_u32_e32 vcc_lo, 0x40f, v21
	v_bfe_u32 v21, v12, 20, 11
	s_delay_alu instid0(VALU_DEP_3)
	v_or_b32_e32 v7, v28, v7
	s_wait_alu 0xfffd
	v_cndmask_b32_e32 v3, v19, v20, vcc_lo
	v_cmp_ne_u32_e32 vcc_lo, 0, v11
	v_lshl_or_b32 v19, v23, 12, v9
	v_lshrrev_b32_e32 v20, 8, v12
	v_lshrrev_b32_e32 v12, 16, v12
	v_and_or_b32 v3, 0x8000, v24, v3
	s_wait_alu 0xfffd
	v_cndmask_b32_e64 v11, 0, 1, vcc_lo
	v_cmp_gt_i32_e32 vcc_lo, 1, v23
	s_delay_alu instid0(VALU_DEP_2)
	v_and_or_b32 v11, 0xffe, v20, v11
	s_wait_alu 0xfffd
	v_dual_cndmask_b32 v7, v19, v7 :: v_dual_and_b32 v20, 0xffff, v25
	v_sub_nc_u32_e32 v19, 0x3f1, v21
	v_add_nc_u32_e32 v21, 0xfffffc10, v21
	v_or_b32_e32 v25, 0x1000, v11
	s_delay_alu instid0(VALU_DEP_4)
	v_and_b32_e32 v24, 7, v7
	v_lshl_or_b32 v3, v3, 16, v20
	v_med3_i32 v19, v19, 0, 13
	v_lshrrev_b32_e32 v7, 2, v7
	v_and_or_b32 v15, 0x1ff, v16, v15
	v_cmp_lt_i32_e32 vcc_lo, 5, v24
	v_cmp_eq_u32_e64 s0, 3, v24
	v_lshrrev_b32_e32 v20, v19, v25
	s_wait_loadcnt 0x2
	v_lshrrev_b32_e32 v24, 16, v4
	v_mul_f64_e32 v[17:18], s[26:27], v[17:18]
	v_bfe_u32 v28, v16, 20, 11
	s_or_b32 vcc_lo, s0, vcc_lo
	v_lshlrev_b32_e32 v19, v19, v20
	v_mul_f16_e32 v26, v22, v24
	s_wait_alu 0xfffe
	v_add_co_ci_u32_e32 v7, vcc_lo, 0, v7, vcc_lo
	global_store_b32 v[13:14], v3, off
	v_cmp_ne_u32_e32 vcc_lo, v19, v25
	v_fmac_f16_e32 v26, v8, v4
	v_mul_f16_e32 v8, v8, v24
	v_add_nc_u32_e32 v24, 0xfffffc10, v28
	s_wait_alu 0xfffd
	v_cndmask_b32_e64 v19, 0, 1, vcc_lo
	v_cvt_f32_f16_e32 v25, v26
	v_cmp_ne_u32_e32 vcc_lo, 0, v15
	v_lshrrev_b32_e32 v26, 8, v16
	v_fma_f16 v4, v4, v22, -v8
	v_or_b32_e32 v29, v20, v19
	v_cvt_f64_f32_e32 v[19:20], v25
	s_wait_alu 0xfffd
	v_cndmask_b32_e64 v15, 0, 1, vcc_lo
	v_cmp_ne_u32_e32 vcc_lo, 0, v9
	v_lshl_or_b32 v25, v21, 12, v11
	v_cvt_f32_f16_e32 v4, v4
	v_lshrrev_b32_e32 v16, 16, v16
	v_and_or_b32 v15, 0xffe, v26, v15
	s_wait_alu 0xfffd
	v_cndmask_b32_e64 v9, 0, 1, vcc_lo
	v_cmp_gt_i32_e32 vcc_lo, 1, v21
	v_sub_nc_u32_e32 v26, 0x3f1, v28
	s_delay_alu instid0(VALU_DEP_3)
	v_lshl_or_b32 v9, v9, 9, 0x7c00
	s_wait_alu 0xfffd
	v_cndmask_b32_e32 v25, v25, v29, vcc_lo
	v_cmp_gt_i32_e32 vcc_lo, 31, v23
	v_or_b32_e32 v29, 0x1000, v15
	v_med3_i32 v26, v26, 0, 13
	s_wait_alu 0xfffd
	v_dual_cndmask_b32 v7, 0x7c00, v7 :: v_dual_and_b32 v30, 7, v25
	v_cmp_eq_u32_e32 vcc_lo, 0x40f, v23
	s_delay_alu instid0(VALU_DEP_3) | instskip(SKIP_1) | instid1(VALU_DEP_4)
	v_lshrrev_b32_e32 v3, v26, v29
	v_and_or_b32 v8, 0x1ff, v18, v17
	v_cmp_eq_u32_e64 s0, 3, v30
	v_lshl_or_b32 v17, v24, 12, v15
	s_wait_alu 0xfffd
	v_cndmask_b32_e32 v23, v7, v9, vcc_lo
	v_cmp_lt_i32_e32 vcc_lo, 5, v30
	v_lshlrev_b32_e32 v7, v26, v3
	v_lshrrev_b32_e32 v9, 2, v25
	s_or_b32 vcc_lo, s0, vcc_lo
	s_delay_alu instid0(VALU_DEP_2) | instskip(SKIP_1) | instid1(VALU_DEP_2)
	v_cmp_ne_u32_e64 s1, v7, v29
	s_wait_alu 0xfffe
	v_add_co_ci_u32_e32 v9, vcc_lo, 0, v9, vcc_lo
	v_cmp_ne_u32_e32 vcc_lo, 0, v8
	s_wait_alu 0xf1ff
	v_cndmask_b32_e64 v7, 0, 1, s1
	v_cmp_eq_u32_e64 s1, 0x40f, v24
	s_wait_alu 0xfffd
	v_cndmask_b32_e64 v22, 0, 1, vcc_lo
	v_cmp_ne_u32_e32 vcc_lo, 0, v11
	v_or_b32_e32 v10, v3, v7
	v_cvt_f64_f32_e32 v[3:4], v4
	v_mul_f64_e32 v[7:8], s[26:27], v[19:20]
	v_lshrrev_b32_e32 v19, 8, v18
	v_bfe_u32 v20, v18, 20, 11
	s_wait_alu 0xfffd
	v_cndmask_b32_e64 v11, 0, 1, vcc_lo
	v_cmp_gt_i32_e32 vcc_lo, 1, v24
	v_lshrrev_b32_e32 v18, 16, v18
	v_and_or_b32 v19, 0xffe, v19, v22
	s_delay_alu instid0(VALU_DEP_4)
	v_lshl_or_b32 v11, v11, 9, 0x7c00
	s_wait_alu 0xfffd
	v_cndmask_b32_e32 v17, v17, v10, vcc_lo
	v_sub_nc_u32_e32 v10, 0x3f1, v20
	v_cmp_gt_i32_e32 vcc_lo, 31, v21
	v_or_b32_e32 v22, 0x1000, v19
	s_delay_alu instid0(VALU_DEP_3)
	v_med3_i32 v25, v10, 0, 13
	s_wait_alu 0xfffd
	v_cndmask_b32_e32 v9, 0x7c00, v9, vcc_lo
	v_cmp_eq_u32_e32 vcc_lo, 0x40f, v21
	v_and_b32_e32 v26, 7, v17
	v_lshrrev_b32_e32 v17, 2, v17
	v_lshrrev_b32_e32 v21, v25, v22
	s_wait_alu 0xfffd
	v_cndmask_b32_e32 v11, v9, v11, vcc_lo
	v_cmp_lt_i32_e32 vcc_lo, 5, v26
	v_cmp_eq_u32_e64 s0, 3, v26
	ds_load_2addr_b32 v[9:10], v1 offset0:104 offset1:144
	v_and_or_b32 v1, 0x8000, v31, v23
	v_lshlrev_b32_e32 v23, v25, v21
	v_and_or_b32 v25, 0x8000, v12, v11
	s_or_b32 vcc_lo, s0, vcc_lo
	s_wait_alu 0xfffe
	v_add_co_ci_u32_e32 v11, vcc_lo, 0, v17, vcc_lo
	v_cmp_ne_u32_e32 vcc_lo, v23, v22
	v_add_nc_u32_e32 v17, 0xfffffc10, v20
	s_wait_loadcnt 0x1
	v_lshrrev_b32_e32 v22, 16, v6
	v_and_b32_e32 v1, 0xffff, v1
	v_mul_f64_e32 v[3:4], s[26:27], v[3:4]
	s_wait_alu 0xfffd
	v_cndmask_b32_e64 v12, 0, 1, vcc_lo
	v_cmp_gt_i32_e32 vcc_lo, 31, v24
	v_and_or_b32 v7, 0x1ff, v8, v7
	v_lshrrev_b32_e32 v23, 8, v8
	v_bfe_u32 v26, v8, 20, 11
	v_lshrrev_b32_e32 v8, 16, v8
	s_wait_alu 0xfffd
	v_cndmask_b32_e32 v20, 0x7c00, v11, vcc_lo
	v_cmp_ne_u32_e32 vcc_lo, 0, v15
	v_or_b32_e32 v11, v21, v12
	v_lshl_or_b32 v12, v17, 12, v19
	s_wait_dscnt 0x0
	v_lshrrev_b32_e32 v21, 16, v9
	s_wait_alu 0xfffd
	v_cndmask_b32_e64 v15, 0, 1, vcc_lo
	v_cmp_gt_i32_e32 vcc_lo, 1, v17
	s_delay_alu instid0(VALU_DEP_2)
	v_lshl_or_b32 v15, v15, 9, 0x7c00
	s_wait_alu 0xfffd
	v_cndmask_b32_e32 v11, v12, v11, vcc_lo
	v_cmp_ne_u32_e32 vcc_lo, 0, v7
	v_mul_f16_e32 v12, v21, v22
	v_cndmask_b32_e64 v15, v20, v15, s1
	s_delay_alu instid0(VALU_DEP_4)
	v_and_b32_e32 v28, 7, v11
	s_wait_alu 0xfffd
	v_cndmask_b32_e64 v7, 0, 1, vcc_lo
	v_fmac_f16_e32 v12, v9, v6
	v_lshrrev_b32_e32 v29, 2, v11
	v_mul_f16_e32 v9, v9, v22
	v_cmp_lt_i32_e32 vcc_lo, 5, v28
	v_and_or_b32 v23, 0xffe, v23, v7
	v_sub_nc_u32_e32 v7, 0x3f1, v26
	v_cvt_f32_f16_e32 v12, v12
	v_cmp_eq_u32_e64 s0, 3, v28
	v_add_nc_u32_e32 v26, 0xfffffc10, v26
	v_or_b32_e32 v28, 0x1000, v23
	v_med3_i32 v7, v7, 0, 13
	v_cvt_f64_f32_e32 v[11:12], v12
	s_or_b32 vcc_lo, s0, vcc_lo
	v_and_or_b32 v3, 0x1ff, v4, v3
	s_wait_alu 0xfffe
	v_add_co_ci_u32_e32 v24, vcc_lo, 0, v29, vcc_lo
	v_lshrrev_b32_e32 v20, v7, v28
	v_cmp_ne_u32_e32 vcc_lo, 0, v19
	v_lshrrev_b32_e32 v22, 8, v4
	v_fma_f16 v6, v6, v21, -v9
	v_lshl_or_b32 v9, v26, 12, v23
	v_lshlrev_b32_e32 v7, v7, v20
	s_wait_alu 0xfffd
	v_cndmask_b32_e64 v19, 0, 1, vcc_lo
	v_cmp_gt_i32_e32 vcc_lo, 31, v17
	v_cvt_f32_f16_e32 v6, v6
	s_delay_alu instid0(VALU_DEP_3)
	v_lshl_or_b32 v19, v19, 9, 0x7c00
	s_wait_alu 0xfffd
	v_cndmask_b32_e32 v24, 0x7c00, v24, vcc_lo
	v_cmp_ne_u32_e32 vcc_lo, v7, v28
	v_bfe_u32 v28, v4, 20, 11
	s_wait_alu 0xfffd
	v_cndmask_b32_e64 v7, 0, 1, vcc_lo
	v_cmp_ne_u32_e32 vcc_lo, 0, v3
	s_delay_alu instid0(VALU_DEP_2) | instskip(SKIP_4) | instid1(VALU_DEP_3)
	v_or_b32_e32 v7, v20, v7
	s_wait_alu 0xfffd
	v_cndmask_b32_e64 v3, 0, 1, vcc_lo
	v_sub_nc_u32_e32 v20, 0x3f1, v28
	v_cmp_gt_i32_e32 vcc_lo, 1, v26
	v_and_or_b32 v3, 0xffe, v22, v3
	s_delay_alu instid0(VALU_DEP_3)
	v_med3_i32 v20, v20, 0, 13
	s_wait_alu 0xfffd
	v_cndmask_b32_e32 v9, v9, v7, vcc_lo
	v_cmp_eq_u32_e32 vcc_lo, 0x40f, v17
	v_cvt_f64_f32_e32 v[6:7], v6
	v_or_b32_e32 v21, 0x1000, v3
	v_mul_f64_e32 v[11:12], s[26:27], v[11:12]
	s_wait_alu 0xfffd
	v_dual_cndmask_b32 v17, v24, v19 :: v_dual_and_b32 v22, 7, v9
	v_lshl_or_b32 v24, v25, 16, v1
	v_lshrrev_b32_e32 v19, v20, v21
	v_and_or_b32 v1, 0x8000, v16, v15
	s_delay_alu instid0(VALU_DEP_4)
	v_cmp_lt_i32_e32 vcc_lo, 5, v22
	v_cmp_eq_u32_e64 s0, 3, v22
	v_lshrrev_b32_e32 v9, 2, v9
	v_lshlrev_b32_e32 v15, v20, v19
	v_and_or_b32 v17, 0x8000, v18, v17
	v_add_nc_u32_e32 v18, 0xfffffc10, v28
	s_or_b32 vcc_lo, s0, vcc_lo
	s_wait_loadcnt 0x0
	v_lshrrev_b32_e32 v20, 16, v5
	v_cmp_ne_u32_e64 s1, v15, v21
	s_wait_alu 0xfffe
	v_add_co_ci_u32_e32 v9, vcc_lo, 0, v9, vcc_lo
	v_cmp_ne_u32_e32 vcc_lo, 0, v23
	v_lshl_or_b32 v16, v18, 12, v3
	s_wait_alu 0xf1ff
	v_cndmask_b32_e64 v15, 0, 1, s1
	v_and_b32_e32 v1, 0xffff, v1
	s_wait_alu 0xfffd
	v_cndmask_b32_e64 v21, 0, 1, vcc_lo
	v_cmp_gt_i32_e32 vcc_lo, 1, v18
	v_or_b32_e32 v15, v19, v15
	v_lshrrev_b32_e32 v19, 16, v10
	v_lshl_or_b32 v17, v17, 16, v1
	v_lshl_or_b32 v21, v21, 9, 0x7c00
	s_wait_alu 0xfffd
	v_cndmask_b32_e32 v15, v16, v15, vcc_lo
	v_cmp_gt_i32_e32 vcc_lo, 31, v26
	v_mul_f16_e32 v16, v19, v20
	s_wait_alu 0xfffd
	s_delay_alu instid0(VALU_DEP_3) | instskip(SKIP_1) | instid1(VALU_DEP_3)
	v_dual_cndmask_b32 v9, 0x7c00, v9 :: v_dual_and_b32 v22, 7, v15
	v_cmp_eq_u32_e32 vcc_lo, 0x40f, v26
	v_fmac_f16_e32 v16, v10, v5
	v_mul_f64_e32 v[6:7], s[26:27], v[6:7]
	s_delay_alu instid0(VALU_DEP_4)
	v_cmp_eq_u32_e64 s0, 3, v22
	v_lshrrev_b32_e32 v15, 2, v15
	s_wait_alu 0xfffd
	v_cndmask_b32_e32 v21, v9, v21, vcc_lo
	v_cmp_lt_i32_e32 vcc_lo, 5, v22
	v_cvt_f32_f16_e32 v9, v16
	v_mul_f16_e32 v16, v10, v20
	v_and_or_b32 v11, 0x1ff, v12, v11
	v_bfe_u32 v20, v12, 20, 11
	s_or_b32 vcc_lo, s0, vcc_lo
	v_cvt_f64_f32_e32 v[9:10], v9
	v_fma_f16 v5, v5, v19, -v16
	s_wait_alu 0xfffe
	v_add_co_ci_u32_e32 v19, vcc_lo, 0, v15, vcc_lo
	v_cmp_ne_u32_e32 vcc_lo, 0, v11
	v_lshrrev_b32_e32 v15, 8, v12
	v_cvt_f32_f16_e32 v5, v5
	v_and_or_b32 v21, 0x8000, v8, v21
	v_lshrrev_b32_e32 v12, 16, v12
	s_wait_alu 0xfffd
	v_cndmask_b32_e64 v11, 0, 1, vcc_lo
	v_cmp_ne_u32_e32 vcc_lo, 0, v3
	s_delay_alu instid0(VALU_DEP_2)
	v_and_or_b32 v22, 0xffe, v15, v11
	v_cvt_f64_f32_e32 v[15:16], v5
	s_wait_alu 0xfffd
	v_cndmask_b32_e64 v3, 0, 1, vcc_lo
	v_sub_nc_u32_e32 v5, 0x3f1, v20
	v_cmp_gt_i32_e32 vcc_lo, 31, v18
	s_delay_alu instid0(VALU_DEP_3) | instskip(NEXT) | instid1(VALU_DEP_3)
	v_lshl_or_b32 v3, v3, 9, 0x7c00
	v_med3_i32 v5, v5, 0, 13
	s_wait_alu 0xfffd
	v_cndmask_b32_e32 v11, 0x7c00, v19, vcc_lo
	v_or_b32_e32 v19, 0x1000, v22
	v_cmp_eq_u32_e32 vcc_lo, 0x40f, v18
	v_lshrrev_b32_e32 v18, 16, v4
	v_and_or_b32 v8, 0x1ff, v7, v6
	s_delay_alu instid0(VALU_DEP_4)
	v_lshrrev_b32_e32 v23, v5, v19
	s_wait_alu 0xfffd
	v_cndmask_b32_e32 v11, v11, v3, vcc_lo
	v_add_co_u32 v3, vcc_lo, v13, s24
	s_wait_alu 0xfffd
	v_add_co_ci_u32_e32 v4, vcc_lo, s25, v14, vcc_lo
	v_lshlrev_b32_e32 v1, v5, v23
	v_mad_co_u64_u32 v[5:6], null, s20, v27, 0
	v_and_or_b32 v18, 0x8000, v18, v11
	s_delay_alu instid0(VALU_DEP_3)
	v_cmp_ne_u32_e32 vcc_lo, v1, v19
	v_add_nc_u32_e32 v19, 0xfffffc10, v20
	v_bfe_u32 v20, v7, 20, 11
	s_wait_alu 0xfffd
	v_cndmask_b32_e64 v1, 0, 1, vcc_lo
	v_cmp_ne_u32_e32 vcc_lo, 0, v8
	v_mul_f64_e32 v[8:9], s[26:27], v[9:10]
	v_lshrrev_b32_e32 v10, 8, v7
	v_lshl_or_b32 v14, v19, 12, v22
	v_or_b32_e32 v13, v23, v1
	s_wait_alu 0xfffd
	v_cndmask_b32_e64 v11, 0, 1, vcc_lo
	v_cmp_gt_i32_e32 vcc_lo, 1, v19
	v_mov_b32_e32 v1, v6
	v_sub_nc_u32_e32 v6, 0x3f1, v20
	v_lshrrev_b32_e32 v7, 16, v7
	v_and_or_b32 v23, 0xffe, v10, v11
	s_wait_alu 0xfffd
	v_cndmask_b32_e32 v25, v14, v13, vcc_lo
	v_mul_f64_e32 v[10:11], s[26:27], v[15:16]
	v_med3_i32 v26, v6, 0, 13
	v_mad_co_u64_u32 v[13:14], null, s21, v27, v[1:2]
	v_or_b32_e32 v16, 0x1000, v23
	v_and_b32_e32 v1, 0xffff, v21
	v_and_b32_e32 v21, 7, v25
	v_add_co_u32 v14, vcc_lo, v3, s24
	s_delay_alu instid0(VALU_DEP_4)
	v_lshrrev_b32_e32 v27, v26, v16
	s_wait_alu 0xfffd
	v_add_co_ci_u32_e32 v15, vcc_lo, s25, v4, vcc_lo
	v_cmp_lt_i32_e32 vcc_lo, 5, v21
	v_cmp_eq_u32_e64 s0, 3, v21
	v_lshl_or_b32 v18, v18, 16, v1
	v_lshrrev_b32_e32 v1, 2, v25
	v_dual_mov_b32 v6, v13 :: v_dual_lshlrev_b32 v13, v26, v27
	s_delay_alu instid0(VALU_DEP_4) | instskip(SKIP_1) | instid1(VALU_DEP_2)
	s_or_b32 vcc_lo, s0, vcc_lo
	s_wait_alu 0xfffe
	v_add_co_ci_u32_e32 v1, vcc_lo, 0, v1, vcc_lo
	s_delay_alu instid0(VALU_DEP_2)
	v_cmp_ne_u32_e64 s1, v13, v16
	v_cmp_ne_u32_e32 vcc_lo, 0, v22
	v_add_nc_u32_e32 v16, 0xfffffc10, v20
	v_lshlrev_b64_e32 v[5:6], 2, v[5:6]
	s_wait_alu 0xf1ff
	v_cndmask_b32_e64 v13, 0, 1, s1
	s_wait_alu 0xfffd
	v_cndmask_b32_e64 v20, 0, 1, vcc_lo
	v_cmp_gt_i32_e32 vcc_lo, 31, v19
	v_lshl_or_b32 v21, v16, 12, v23
	v_and_or_b32 v8, 0x1ff, v9, v8
	v_or_b32_e32 v13, v27, v13
	v_lshl_or_b32 v20, v20, 9, 0x7c00
	s_wait_alu 0xfffd
	v_cndmask_b32_e32 v1, 0x7c00, v1, vcc_lo
	v_cmp_gt_i32_e32 vcc_lo, 1, v16
	v_bfe_u32 v22, v9, 20, 11
	v_and_or_b32 v10, 0x1ff, v11, v10
	v_bfe_u32 v25, v11, 20, 11
	s_wait_alu 0xfffd
	v_cndmask_b32_e32 v13, v21, v13, vcc_lo
	v_cmp_ne_u32_e32 vcc_lo, 0, v8
	v_lshrrev_b32_e32 v21, 8, v9
	v_lshrrev_b32_e32 v9, 16, v9
	s_wait_alu 0xfffd
	v_cndmask_b32_e64 v8, 0, 1, vcc_lo
	v_cmp_eq_u32_e32 vcc_lo, 0x40f, v19
	v_and_b32_e32 v19, 7, v13
	v_lshrrev_b32_e32 v13, 2, v13
	s_wait_alu 0xfffd
	v_cndmask_b32_e32 v1, v1, v20, vcc_lo
	v_and_or_b32 v20, 0xffe, v21, v8
	v_sub_nc_u32_e32 v8, 0x3f1, v22
	v_cmp_ne_u32_e32 vcc_lo, 0, v10
	v_lshrrev_b32_e32 v21, 8, v11
	v_cmp_eq_u32_e64 s0, 3, v19
	v_or_b32_e32 v26, 0x1000, v20
	v_med3_i32 v8, v8, 0, 13
	s_wait_alu 0xfffd
	v_cndmask_b32_e64 v10, 0, 1, vcc_lo
	v_cmp_lt_i32_e32 vcc_lo, 5, v19
	v_add_nc_u32_e32 v22, 0xfffffc10, v22
	v_and_or_b32 v12, 0x8000, v12, v1
	v_lshrrev_b32_e32 v19, v8, v26
	v_and_or_b32 v10, 0xffe, v21, v10
	v_sub_nc_u32_e32 v21, 0x3f1, v25
	s_or_b32 vcc_lo, s0, vcc_lo
	v_add_nc_u32_e32 v25, 0xfffffc10, v25
	s_wait_alu 0xfffe
	v_add_co_ci_u32_e32 v13, vcc_lo, 0, v13, vcc_lo
	v_or_b32_e32 v27, 0x1000, v10
	v_med3_i32 v21, v21, 0, 13
	v_lshlrev_b32_e32 v8, v8, v19
	v_cmp_gt_i32_e32 vcc_lo, 31, v16
	v_lshrrev_b32_e32 v11, 16, v11
	v_and_b32_e32 v12, 0xffff, v12
	v_lshrrev_b32_e32 v28, v21, v27
	s_wait_alu 0xfffd
	v_cndmask_b32_e32 v13, 0x7c00, v13, vcc_lo
	v_cmp_ne_u32_e32 vcc_lo, v8, v26
	s_delay_alu instid0(VALU_DEP_3) | instskip(SKIP_3) | instid1(VALU_DEP_2)
	v_lshlrev_b32_e32 v21, v21, v28
	s_wait_alu 0xfffd
	v_cndmask_b32_e64 v8, 0, 1, vcc_lo
	v_cmp_ne_u32_e32 vcc_lo, 0, v23
	v_or_b32_e32 v8, v19, v8
	s_wait_alu 0xfffd
	v_cndmask_b32_e64 v23, 0, 1, vcc_lo
	v_cmp_ne_u32_e32 vcc_lo, v21, v27
	v_lshl_or_b32 v19, v22, 12, v20
	s_delay_alu instid0(VALU_DEP_3)
	v_lshl_or_b32 v23, v23, 9, 0x7c00
	s_wait_alu 0xfffd
	v_cndmask_b32_e64 v21, 0, 1, vcc_lo
	v_cmp_gt_i32_e32 vcc_lo, 1, v22
	s_wait_alu 0xfffd
	v_cndmask_b32_e32 v19, v19, v8, vcc_lo
	v_cmp_eq_u32_e32 vcc_lo, 0x40f, v16
	v_or_b32_e32 v8, v28, v21
	v_lshl_or_b32 v21, v25, 12, v10
	s_delay_alu instid0(VALU_DEP_4) | instskip(SKIP_3) | instid1(VALU_DEP_3)
	v_and_b32_e32 v16, 7, v19
	s_wait_alu 0xfffd
	v_cndmask_b32_e32 v13, v13, v23, vcc_lo
	v_cmp_gt_i32_e32 vcc_lo, 1, v25
	v_cmp_eq_u32_e64 s0, 3, v16
	s_delay_alu instid0(VALU_DEP_3)
	v_and_or_b32 v13, 0x8000, v7, v13
	s_wait_alu 0xfffd
	v_cndmask_b32_e32 v21, v21, v8, vcc_lo
	v_cmp_lt_i32_e32 vcc_lo, 5, v16
	v_lshrrev_b32_e32 v16, 2, v19
	v_mad_co_u64_u32 v[7:8], null, 0x140, s20, v[14:15]
	s_delay_alu instid0(VALU_DEP_4) | instskip(SKIP_1) | instid1(VALU_DEP_1)
	v_and_b32_e32 v1, 7, v21
	s_or_b32 vcc_lo, s0, vcc_lo
	v_cmp_lt_i32_e64 s1, 5, v1
	v_cmp_eq_u32_e64 s2, 3, v1
	s_wait_alu 0xfffe
	v_add_co_ci_u32_e32 v1, vcc_lo, 0, v16, vcc_lo
	v_cmp_ne_u32_e32 vcc_lo, 0, v20
	v_lshrrev_b32_e32 v16, 2, v21
	s_wait_alu 0xfffd
	v_cndmask_b32_e64 v19, 0, 1, vcc_lo
	s_or_b32 vcc_lo, s2, s1
	s_wait_alu 0xfffe
	v_add_co_ci_u32_e32 v16, vcc_lo, 0, v16, vcc_lo
	v_cmp_ne_u32_e32 vcc_lo, 0, v10
	v_lshl_or_b32 v19, v19, 9, 0x7c00
	s_wait_alu 0xfffd
	v_cndmask_b32_e64 v10, 0, 1, vcc_lo
	v_cmp_gt_i32_e32 vcc_lo, 31, v22
	s_delay_alu instid0(VALU_DEP_2)
	v_lshl_or_b32 v10, v10, 9, 0x7c00
	s_wait_alu 0xfffd
	v_cndmask_b32_e32 v1, 0x7c00, v1, vcc_lo
	v_cmp_gt_i32_e32 vcc_lo, 31, v25
	s_wait_alu 0xfffd
	v_cndmask_b32_e32 v16, 0x7c00, v16, vcc_lo
	v_cmp_eq_u32_e32 vcc_lo, 0x40f, v22
	s_wait_alu 0xfffd
	v_cndmask_b32_e32 v19, v1, v19, vcc_lo
	v_cmp_eq_u32_e32 vcc_lo, 0x40f, v25
	v_mov_b32_e32 v1, v8
	s_wait_alu 0xfffd
	v_cndmask_b32_e32 v10, v16, v10, vcc_lo
	v_and_or_b32 v16, 0x8000, v9, v19
	s_delay_alu instid0(VALU_DEP_3) | instskip(SKIP_1) | instid1(VALU_DEP_4)
	v_mad_co_u64_u32 v[8:9], null, 0x140, s21, v[1:2]
	v_add_co_u32 v0, vcc_lo, v0, v5
	v_and_or_b32 v9, 0x8000, v11, v10
	s_delay_alu instid0(VALU_DEP_4)
	v_and_b32_e32 v10, 0xffff, v16
	s_wait_alu 0xfffd
	v_add_co_ci_u32_e32 v1, vcc_lo, v2, v6, vcc_lo
	v_add_co_u32 v5, vcc_lo, v7, s24
	v_lshl_or_b32 v2, v13, 16, v12
	v_lshl_or_b32 v9, v9, 16, v10
	s_wait_alu 0xfffd
	v_add_co_ci_u32_e32 v6, vcc_lo, s25, v8, vcc_lo
	global_store_b32 v[3:4], v24, off
	global_store_b32 v[14:15], v17, off
	;; [unrolled: 1-line block ×5, first 2 shown]
.LBB0_23:
	s_nop 0
	s_sendmsg sendmsg(MSG_DEALLOC_VGPRS)
	s_endpgm
	.section	.rodata,"a",@progbits
	.p2align	6, 0x0
	.amdhsa_kernel bluestein_single_fwd_len440_dim1_half_op_CI_CI
		.amdhsa_group_segment_fixed_size 1760
		.amdhsa_private_segment_fixed_size 0
		.amdhsa_kernarg_size 104
		.amdhsa_user_sgpr_count 2
		.amdhsa_user_sgpr_dispatch_ptr 0
		.amdhsa_user_sgpr_queue_ptr 0
		.amdhsa_user_sgpr_kernarg_segment_ptr 1
		.amdhsa_user_sgpr_dispatch_id 0
		.amdhsa_user_sgpr_private_segment_size 0
		.amdhsa_wavefront_size32 1
		.amdhsa_uses_dynamic_stack 0
		.amdhsa_enable_private_segment 0
		.amdhsa_system_sgpr_workgroup_id_x 1
		.amdhsa_system_sgpr_workgroup_id_y 0
		.amdhsa_system_sgpr_workgroup_id_z 0
		.amdhsa_system_sgpr_workgroup_info 0
		.amdhsa_system_vgpr_workitem_id 0
		.amdhsa_next_free_vgpr 147
		.amdhsa_next_free_sgpr 28
		.amdhsa_reserve_vcc 1
		.amdhsa_float_round_mode_32 0
		.amdhsa_float_round_mode_16_64 0
		.amdhsa_float_denorm_mode_32 3
		.amdhsa_float_denorm_mode_16_64 3
		.amdhsa_fp16_overflow 0
		.amdhsa_workgroup_processor_mode 1
		.amdhsa_memory_ordered 1
		.amdhsa_forward_progress 0
		.amdhsa_round_robin_scheduling 0
		.amdhsa_exception_fp_ieee_invalid_op 0
		.amdhsa_exception_fp_denorm_src 0
		.amdhsa_exception_fp_ieee_div_zero 0
		.amdhsa_exception_fp_ieee_overflow 0
		.amdhsa_exception_fp_ieee_underflow 0
		.amdhsa_exception_fp_ieee_inexact 0
		.amdhsa_exception_int_div_zero 0
	.end_amdhsa_kernel
	.text
.Lfunc_end0:
	.size	bluestein_single_fwd_len440_dim1_half_op_CI_CI, .Lfunc_end0-bluestein_single_fwd_len440_dim1_half_op_CI_CI
                                        ; -- End function
	.section	.AMDGPU.csdata,"",@progbits
; Kernel info:
; codeLenInByte = 18284
; NumSgprs: 30
; NumVgprs: 147
; ScratchSize: 0
; MemoryBound: 0
; FloatMode: 240
; IeeeMode: 1
; LDSByteSize: 1760 bytes/workgroup (compile time only)
; SGPRBlocks: 3
; VGPRBlocks: 18
; NumSGPRsForWavesPerEU: 30
; NumVGPRsForWavesPerEU: 147
; Occupancy: 9
; WaveLimiterHint : 1
; COMPUTE_PGM_RSRC2:SCRATCH_EN: 0
; COMPUTE_PGM_RSRC2:USER_SGPR: 2
; COMPUTE_PGM_RSRC2:TRAP_HANDLER: 0
; COMPUTE_PGM_RSRC2:TGID_X_EN: 1
; COMPUTE_PGM_RSRC2:TGID_Y_EN: 0
; COMPUTE_PGM_RSRC2:TGID_Z_EN: 0
; COMPUTE_PGM_RSRC2:TIDIG_COMP_CNT: 0
	.text
	.p2alignl 7, 3214868480
	.fill 96, 4, 3214868480
	.type	__hip_cuid_712e7bd2615990f1,@object ; @__hip_cuid_712e7bd2615990f1
	.section	.bss,"aw",@nobits
	.globl	__hip_cuid_712e7bd2615990f1
__hip_cuid_712e7bd2615990f1:
	.byte	0                               ; 0x0
	.size	__hip_cuid_712e7bd2615990f1, 1

	.ident	"AMD clang version 19.0.0git (https://github.com/RadeonOpenCompute/llvm-project roc-6.4.0 25133 c7fe45cf4b819c5991fe208aaa96edf142730f1d)"
	.section	".note.GNU-stack","",@progbits
	.addrsig
	.addrsig_sym __hip_cuid_712e7bd2615990f1
	.amdgpu_metadata
---
amdhsa.kernels:
  - .args:
      - .actual_access:  read_only
        .address_space:  global
        .offset:         0
        .size:           8
        .value_kind:     global_buffer
      - .actual_access:  read_only
        .address_space:  global
        .offset:         8
        .size:           8
        .value_kind:     global_buffer
      - .actual_access:  read_only
        .address_space:  global
        .offset:         16
        .size:           8
        .value_kind:     global_buffer
      - .actual_access:  read_only
        .address_space:  global
        .offset:         24
        .size:           8
        .value_kind:     global_buffer
      - .actual_access:  read_only
        .address_space:  global
        .offset:         32
        .size:           8
        .value_kind:     global_buffer
      - .offset:         40
        .size:           8
        .value_kind:     by_value
      - .address_space:  global
        .offset:         48
        .size:           8
        .value_kind:     global_buffer
      - .address_space:  global
        .offset:         56
        .size:           8
        .value_kind:     global_buffer
      - .address_space:  global
        .offset:         64
        .size:           8
        .value_kind:     global_buffer
      - .address_space:  global
        .offset:         72
        .size:           8
        .value_kind:     global_buffer
      - .offset:         80
        .size:           4
        .value_kind:     by_value
      - .address_space:  global
        .offset:         88
        .size:           8
        .value_kind:     global_buffer
      - .address_space:  global
        .offset:         96
        .size:           8
        .value_kind:     global_buffer
    .group_segment_fixed_size: 1760
    .kernarg_segment_align: 8
    .kernarg_segment_size: 104
    .language:       OpenCL C
    .language_version:
      - 2
      - 0
    .max_flat_workgroup_size: 55
    .name:           bluestein_single_fwd_len440_dim1_half_op_CI_CI
    .private_segment_fixed_size: 0
    .sgpr_count:     30
    .sgpr_spill_count: 0
    .symbol:         bluestein_single_fwd_len440_dim1_half_op_CI_CI.kd
    .uniform_work_group_size: 1
    .uses_dynamic_stack: false
    .vgpr_count:     147
    .vgpr_spill_count: 0
    .wavefront_size: 32
    .workgroup_processor_mode: 1
amdhsa.target:   amdgcn-amd-amdhsa--gfx1201
amdhsa.version:
  - 1
  - 2
...

	.end_amdgpu_metadata
